;; amdgpu-corpus repo=zjin-lcf/HeCBench kind=compiled arch=gfx1250 opt=O3
	.amdgcn_target "amdgcn-amd-amdhsa--gfx1250"
	.amdhsa_code_object_version 6
	.text
	.protected	_Z14Padding_kerneliiiifPdPKdPi ; -- Begin function _Z14Padding_kerneliiiifPdPKdPi
	.globl	_Z14Padding_kerneliiiifPdPKdPi
	.p2align	8
	.type	_Z14Padding_kerneliiiifPdPKdPi,@function
_Z14Padding_kerneliiiifPdPKdPi:         ; @_Z14Padding_kerneliiiifPdPKdPi
; %bb.0:
	s_clause 0x1
	s_load_b128 s[4:7], s[0:1], 0x0
	s_load_b32 s2, s[0:1], 0x10
	s_bfe_u32 s8, ttmp6, 0x4000c
	s_and_b32 s9, ttmp6, 15
	s_add_co_i32 s8, s8, 1
	s_mov_b32 s19, 0
	s_wait_kmcnt 0x0
	s_cvt_f32_i32 s3, s7
	s_delay_alu instid0(SALU_CYCLE_3)
	s_mul_f32 s2, s2, s3
	s_mul_i32 s3, ttmp9, s8
	s_getreg_b32 s8, hwreg(HW_REG_IB_STS2, 6, 4)
	s_add_co_i32 s9, s9, s3
	s_cvt_i32_f32 s2, s2
	s_cmp_eq_u32 s8, 0
	s_cselect_b32 s3, ttmp9, s9
	s_delay_alu instid0(SALU_CYCLE_1) | instskip(NEXT) | instid1(SALU_CYCLE_1)
	s_add_co_i32 s16, s2, s3
	s_cmp_ge_i32 s16, s7
	s_cbranch_scc1 .LBB0_138
; %bb.1:
	s_load_b32 s2, s[0:1], 0x3c
	s_add_co_i32 s6, s6, s4
	v_cmp_eq_u32_e32 vcc_lo, 0, v0
	s_mul_i32 s5, s6, s5
	s_wait_kmcnt 0x0
	s_and_b32 s15, s2, 0xffff
	s_delay_alu instid0(SALU_CYCLE_1) | instskip(NEXT) | instid1(SALU_CYCLE_1)
	s_lshl_b32 s2, s15, 5
	s_cvt_f32_u32 s3, s2
	s_sub_co_i32 s20, 0, s2
	s_add_co_i32 s9, s5, s2
	s_delay_alu instid0(SALU_CYCLE_1) | instskip(SKIP_2) | instid1(TRANS32_DEP_1)
	s_add_co_i32 s17, s9, -1
	v_rcp_iflag_f32_e32 v1, s3
	v_nop
	v_readfirstlane_b32 s3, v1
	s_mul_f32 s3, s3, 0x4f7ffffe
	s_delay_alu instid0(SALU_CYCLE_3) | instskip(NEXT) | instid1(SALU_CYCLE_3)
	s_cvt_u32_f32 s3, s3
	s_mul_i32 s8, s20, s3
	s_delay_alu instid0(SALU_CYCLE_1) | instskip(NEXT) | instid1(SALU_CYCLE_1)
	s_mul_hi_u32 s8, s3, s8
	s_add_co_i32 s3, s3, s8
	s_delay_alu instid0(SALU_CYCLE_1) | instskip(NEXT) | instid1(SALU_CYCLE_1)
	s_mul_hi_u32 s3, s17, s3
	s_mul_i32 s3, s3, s2
	s_delay_alu instid0(SALU_CYCLE_1) | instskip(NEXT) | instid1(SALU_CYCLE_1)
	s_sub_co_i32 s3, s17, s3
	s_sub_co_i32 s8, s3, s2
	s_cmp_ge_u32 s3, s2
	s_cselect_b32 s3, s8, s3
	s_delay_alu instid0(SALU_CYCLE_1)
	s_sub_co_i32 s8, s3, s2
	s_cmp_ge_u32 s3, s2
	s_cselect_b32 s2, s8, s3
	s_abs_i32 s21, s6
	s_clause 0x1
	s_load_b128 s[8:11], s[0:1], 0x18
	s_load_b96 s[12:14], s[0:1], 0x28
	s_cvt_f32_u32 s3, s21
	s_wait_xcnt 0x0
	s_not_b32 s1, s2
	s_ashr_i32 s22, s6, 31
	v_rcp_iflag_f32_e32 v1, s3
	v_nop
	s_delay_alu instid0(TRANS32_DEP_1) | instskip(SKIP_3) | instid1(VALU_DEP_1)
	v_readfirstlane_b32 s0, v1
	v_sub_nc_u32_e32 v1, s1, v0
	s_sub_co_i32 s1, 0, s21
	s_mul_f32 s0, s0, 0x4f7ffffe
	v_dual_mov_b32 v1, 0 :: v_dual_add_nc_u32 v66, s17, v1
	s_delay_alu instid0(SALU_CYCLE_2) | instskip(NEXT) | instid1(SALU_CYCLE_3)
	s_cvt_u32_f32 s0, s0
	s_mul_i32 s1, s1, s0
	s_delay_alu instid0(SALU_CYCLE_1) | instskip(NEXT) | instid1(SALU_CYCLE_1)
	s_mul_hi_u32 s1, s0, s1
	s_add_co_i32 s18, s0, s1
	s_branch .LBB0_3
.LBB0_2:                                ;   in Loop: Header=BB0_3 Depth=1
	s_wait_xcnt 0x0
	s_or_b32 exec_lo, exec_lo, s0
	s_wait_kmcnt 0x0
	s_add_co_i32 s16, s16, s14
	s_delay_alu instid0(SALU_CYCLE_1)
	s_cmp_ge_i32 s16, s7
	s_cbranch_scc1 .LBB0_138
.LBB0_3:                                ; =>This Loop Header: Depth=1
                                        ;     Child Loop BB0_70 Depth 2
	v_mad_u32 v67, s20, s16, v66
	s_delay_alu instid0(VALU_DEP_1) | instskip(NEXT) | instid1(VALU_DEP_1)
	v_sub_nc_u32_e32 v0, 0, v67
	v_max_i32_e32 v0, v67, v0
	s_delay_alu instid0(VALU_DEP_1) | instskip(NEXT) | instid1(VALU_DEP_1)
	v_mul_u64_e32 v[2:3], s[18:19], v[0:1]
	v_mul_lo_u32 v2, v3, s21
	s_delay_alu instid0(VALU_DEP_1) | instskip(NEXT) | instid1(VALU_DEP_1)
	v_dual_sub_nc_u32 v0, v0, v2 :: v_dual_add_nc_u32 v2, 1, v3
	v_cmp_le_u32_e64 s0, s21, v0
	s_delay_alu instid0(VALU_DEP_1) | instskip(SKIP_1) | instid1(VALU_DEP_1)
	v_dual_cndmask_b32 v2, v3, v2, s0 :: v_dual_ashrrev_i32 v3, 31, v67
	v_subrev_nc_u32_e32 v4, s21, v0
	v_dual_cndmask_b32 v0, v0, v4, s0 :: v_dual_add_nc_u32 v4, 1, v2
	s_delay_alu instid0(VALU_DEP_1) | instskip(NEXT) | instid1(VALU_DEP_1)
	v_cmp_le_u32_e64 s0, s21, v0
	v_dual_cndmask_b32 v0, v2, v4, s0 :: v_dual_bitop2_b32 v3, s22, v3 bitop3:0x14
	v_mov_b64_e32 v[4:5], 0
	s_delay_alu instid0(VALU_DEP_2) | instskip(NEXT) | instid1(VALU_DEP_1)
	v_xor_b32_e32 v0, v0, v3
	v_sub_nc_u32_e32 v0, v0, v3
	s_delay_alu instid0(VALU_DEP_1) | instskip(NEXT) | instid1(VALU_DEP_1)
	v_mul_lo_u32 v2, v0, s6
	v_sub_nc_u32_e32 v2, v67, v2
	s_delay_alu instid0(VALU_DEP_1) | instskip(SKIP_2) | instid1(VALU_DEP_3)
	v_mad_u32 v0, v0, s4, v2
	v_cmp_gt_i32_e64 s0, s4, v2
	v_mov_b64_e32 v[2:3], 0
	v_cmp_gt_i32_e64 s2, s5, v0
	v_cmp_lt_i32_e64 s1, -1, v0
	s_and_b32 s0, s0, s2
	s_delay_alu instid0(SALU_CYCLE_1) | instskip(NEXT) | instid1(SALU_CYCLE_1)
	s_and_b32 s1, s0, s1
	s_and_saveexec_b32 s0, s1
	s_cbranch_execz .LBB0_5
; %bb.4:                                ;   in Loop: Header=BB0_3 Depth=1
	s_wait_kmcnt 0x0
	global_load_b64 v[4:5], v0, s[10:11] scale_offset
.LBB0_5:                                ;   in Loop: Header=BB0_3 Depth=1
	s_wait_xcnt 0x0
	s_or_b32 exec_lo, exec_lo, s0
	v_subrev_nc_u32_e32 v68, s15, v67
	s_delay_alu instid0(VALU_DEP_1) | instskip(NEXT) | instid1(VALU_DEP_1)
	v_sub_nc_u32_e32 v0, 0, v68
	v_max_i32_e32 v0, v68, v0
	s_delay_alu instid0(VALU_DEP_1) | instskip(NEXT) | instid1(VALU_DEP_1)
	v_mul_u64_e32 v[6:7], s[18:19], v[0:1]
	v_mul_lo_u32 v6, v7, s21
	s_delay_alu instid0(VALU_DEP_1) | instskip(NEXT) | instid1(VALU_DEP_1)
	v_dual_sub_nc_u32 v0, v0, v6 :: v_dual_add_nc_u32 v6, 1, v7
	v_cmp_le_u32_e64 s0, s21, v0
	s_delay_alu instid0(VALU_DEP_1) | instskip(SKIP_1) | instid1(VALU_DEP_1)
	v_dual_cndmask_b32 v6, v7, v6, s0 :: v_dual_ashrrev_i32 v7, 31, v68
	v_subrev_nc_u32_e32 v8, s21, v0
	v_dual_cndmask_b32 v0, v0, v8, s0 :: v_dual_add_nc_u32 v8, 1, v6
	s_delay_alu instid0(VALU_DEP_1) | instskip(NEXT) | instid1(VALU_DEP_1)
	v_cmp_le_u32_e64 s0, s21, v0
	v_dual_cndmask_b32 v0, v6, v8, s0 :: v_dual_bitop2_b32 v7, s22, v7 bitop3:0x14
	s_delay_alu instid0(VALU_DEP_1) | instskip(NEXT) | instid1(VALU_DEP_1)
	v_xor_b32_e32 v0, v0, v7
	v_sub_nc_u32_e32 v0, v0, v7
	s_delay_alu instid0(VALU_DEP_1) | instskip(NEXT) | instid1(VALU_DEP_1)
	v_mul_lo_u32 v6, v0, s6
	v_sub_nc_u32_e32 v6, v68, v6
	s_delay_alu instid0(VALU_DEP_1) | instskip(SKIP_1) | instid1(VALU_DEP_2)
	v_mad_u32 v0, v0, s4, v6
	v_cmp_gt_i32_e64 s0, s4, v6
	v_cmp_gt_i32_e64 s1, s5, v0
	v_cmp_lt_i32_e64 s2, -1, v0
	s_and_b32 s0, s0, s1
	s_delay_alu instid0(SALU_CYCLE_1) | instskip(NEXT) | instid1(SALU_CYCLE_1)
	s_and_b32 s1, s0, s2
	s_and_saveexec_b32 s0, s1
	s_cbranch_execz .LBB0_7
; %bb.6:                                ;   in Loop: Header=BB0_3 Depth=1
	s_wait_kmcnt 0x0
	global_load_b64 v[2:3], v0, s[10:11] scale_offset
.LBB0_7:                                ;   in Loop: Header=BB0_3 Depth=1
	s_wait_xcnt 0x0
	s_or_b32 exec_lo, exec_lo, s0
	v_subrev_nc_u32_e32 v69, s15, v68
	s_delay_alu instid0(VALU_DEP_1) | instskip(NEXT) | instid1(VALU_DEP_1)
	v_sub_nc_u32_e32 v0, 0, v69
	v_max_i32_e32 v0, v69, v0
	s_delay_alu instid0(VALU_DEP_1) | instskip(NEXT) | instid1(VALU_DEP_1)
	v_mul_u64_e32 v[6:7], s[18:19], v[0:1]
	v_mul_lo_u32 v6, v7, s21
	s_delay_alu instid0(VALU_DEP_1) | instskip(NEXT) | instid1(VALU_DEP_1)
	v_dual_sub_nc_u32 v0, v0, v6 :: v_dual_add_nc_u32 v6, 1, v7
	v_cmp_le_u32_e64 s0, s21, v0
	s_delay_alu instid0(VALU_DEP_1) | instskip(SKIP_1) | instid1(VALU_DEP_1)
	v_dual_cndmask_b32 v6, v7, v6, s0 :: v_dual_ashrrev_i32 v7, 31, v69
	v_subrev_nc_u32_e32 v8, s21, v0
	v_dual_cndmask_b32 v0, v0, v8, s0 :: v_dual_add_nc_u32 v8, 1, v6
	s_delay_alu instid0(VALU_DEP_1) | instskip(NEXT) | instid1(VALU_DEP_1)
	v_cmp_le_u32_e64 s0, s21, v0
	v_dual_cndmask_b32 v0, v6, v8, s0 :: v_dual_bitop2_b32 v7, s22, v7 bitop3:0x14
	v_mov_b64_e32 v[8:9], 0
	s_delay_alu instid0(VALU_DEP_2) | instskip(NEXT) | instid1(VALU_DEP_1)
	v_xor_b32_e32 v0, v0, v7
	v_sub_nc_u32_e32 v0, v0, v7
	s_delay_alu instid0(VALU_DEP_1) | instskip(NEXT) | instid1(VALU_DEP_1)
	v_mul_lo_u32 v6, v0, s6
	v_sub_nc_u32_e32 v6, v69, v6
	s_delay_alu instid0(VALU_DEP_1) | instskip(SKIP_2) | instid1(VALU_DEP_3)
	v_mad_u32 v0, v0, s4, v6
	v_cmp_gt_i32_e64 s0, s4, v6
	v_mov_b64_e32 v[6:7], 0
	v_cmp_gt_i32_e64 s2, s5, v0
	v_cmp_lt_i32_e64 s1, -1, v0
	s_and_b32 s0, s0, s2
	s_delay_alu instid0(SALU_CYCLE_1) | instskip(NEXT) | instid1(SALU_CYCLE_1)
	s_and_b32 s1, s0, s1
	s_and_saveexec_b32 s0, s1
	s_cbranch_execz .LBB0_9
; %bb.8:                                ;   in Loop: Header=BB0_3 Depth=1
	s_wait_kmcnt 0x0
	global_load_b64 v[8:9], v0, s[10:11] scale_offset
.LBB0_9:                                ;   in Loop: Header=BB0_3 Depth=1
	s_wait_xcnt 0x0
	s_or_b32 exec_lo, exec_lo, s0
	v_subrev_nc_u32_e32 v70, s15, v69
	s_delay_alu instid0(VALU_DEP_1) | instskip(NEXT) | instid1(VALU_DEP_1)
	v_sub_nc_u32_e32 v0, 0, v70
	v_max_i32_e32 v0, v70, v0
	s_delay_alu instid0(VALU_DEP_1) | instskip(NEXT) | instid1(VALU_DEP_1)
	v_mul_u64_e32 v[10:11], s[18:19], v[0:1]
	v_mul_lo_u32 v10, v11, s21
	s_delay_alu instid0(VALU_DEP_1) | instskip(NEXT) | instid1(VALU_DEP_1)
	v_dual_sub_nc_u32 v0, v0, v10 :: v_dual_add_nc_u32 v10, 1, v11
	v_subrev_nc_u32_e32 v12, s21, v0
	v_cmp_le_u32_e64 s0, s21, v0
	s_delay_alu instid0(VALU_DEP_1) | instskip(NEXT) | instid1(VALU_DEP_3)
	v_cndmask_b32_e64 v10, v11, v10, s0
	v_dual_ashrrev_i32 v11, 31, v70 :: v_dual_cndmask_b32 v0, v0, v12, s0
	s_delay_alu instid0(VALU_DEP_2) | instskip(NEXT) | instid1(VALU_DEP_2)
	v_add_nc_u32_e32 v12, 1, v10
	v_cmp_le_u32_e64 s0, s21, v0
	s_delay_alu instid0(VALU_DEP_1) | instskip(NEXT) | instid1(VALU_DEP_1)
	v_dual_cndmask_b32 v0, v10, v12, s0 :: v_dual_bitop2_b32 v11, s22, v11 bitop3:0x14
	v_xor_b32_e32 v0, v0, v11
	s_delay_alu instid0(VALU_DEP_1) | instskip(NEXT) | instid1(VALU_DEP_1)
	v_sub_nc_u32_e32 v0, v0, v11
	v_mul_lo_u32 v10, v0, s6
	s_delay_alu instid0(VALU_DEP_1) | instskip(NEXT) | instid1(VALU_DEP_1)
	v_sub_nc_u32_e32 v10, v70, v10
	v_mad_u32 v0, v0, s4, v10
	v_cmp_gt_i32_e64 s0, s4, v10
	s_delay_alu instid0(VALU_DEP_2) | instskip(SKIP_2) | instid1(SALU_CYCLE_1)
	v_cmp_gt_i32_e64 s1, s5, v0
	v_cmp_lt_i32_e64 s2, -1, v0
	s_and_b32 s0, s0, s1
	s_and_b32 s1, s0, s2
	s_delay_alu instid0(SALU_CYCLE_1)
	s_and_saveexec_b32 s0, s1
	s_cbranch_execz .LBB0_11
; %bb.10:                               ;   in Loop: Header=BB0_3 Depth=1
	s_wait_kmcnt 0x0
	global_load_b64 v[6:7], v0, s[10:11] scale_offset
.LBB0_11:                               ;   in Loop: Header=BB0_3 Depth=1
	s_wait_xcnt 0x0
	s_or_b32 exec_lo, exec_lo, s0
	v_subrev_nc_u32_e32 v71, s15, v70
	s_delay_alu instid0(VALU_DEP_1) | instskip(NEXT) | instid1(VALU_DEP_1)
	v_sub_nc_u32_e32 v0, 0, v71
	v_max_i32_e32 v0, v71, v0
	s_delay_alu instid0(VALU_DEP_1) | instskip(NEXT) | instid1(VALU_DEP_1)
	v_mul_u64_e32 v[10:11], s[18:19], v[0:1]
	v_mul_lo_u32 v10, v11, s21
	s_delay_alu instid0(VALU_DEP_1) | instskip(NEXT) | instid1(VALU_DEP_1)
	v_dual_sub_nc_u32 v0, v0, v10 :: v_dual_add_nc_u32 v10, 1, v11
	v_cmp_le_u32_e64 s0, s21, v0
	s_delay_alu instid0(VALU_DEP_1) | instskip(SKIP_1) | instid1(VALU_DEP_1)
	v_dual_cndmask_b32 v10, v11, v10, s0 :: v_dual_ashrrev_i32 v11, 31, v71
	v_subrev_nc_u32_e32 v12, s21, v0
	v_dual_cndmask_b32 v0, v0, v12, s0 :: v_dual_add_nc_u32 v12, 1, v10
	s_delay_alu instid0(VALU_DEP_1) | instskip(NEXT) | instid1(VALU_DEP_1)
	v_cmp_le_u32_e64 s0, s21, v0
	v_dual_cndmask_b32 v0, v10, v12, s0 :: v_dual_bitop2_b32 v11, s22, v11 bitop3:0x14
	v_mov_b64_e32 v[12:13], 0
	s_delay_alu instid0(VALU_DEP_2) | instskip(NEXT) | instid1(VALU_DEP_1)
	v_xor_b32_e32 v0, v0, v11
	v_sub_nc_u32_e32 v0, v0, v11
	s_delay_alu instid0(VALU_DEP_1) | instskip(NEXT) | instid1(VALU_DEP_1)
	v_mul_lo_u32 v10, v0, s6
	v_sub_nc_u32_e32 v10, v71, v10
	s_delay_alu instid0(VALU_DEP_1) | instskip(SKIP_2) | instid1(VALU_DEP_3)
	v_mad_u32 v0, v0, s4, v10
	v_cmp_gt_i32_e64 s0, s4, v10
	v_mov_b64_e32 v[10:11], 0
	v_cmp_gt_i32_e64 s2, s5, v0
	v_cmp_lt_i32_e64 s1, -1, v0
	s_and_b32 s0, s0, s2
	s_delay_alu instid0(SALU_CYCLE_1) | instskip(NEXT) | instid1(SALU_CYCLE_1)
	s_and_b32 s1, s0, s1
	s_and_saveexec_b32 s0, s1
	s_cbranch_execz .LBB0_13
; %bb.12:                               ;   in Loop: Header=BB0_3 Depth=1
	s_wait_kmcnt 0x0
	global_load_b64 v[12:13], v0, s[10:11] scale_offset
.LBB0_13:                               ;   in Loop: Header=BB0_3 Depth=1
	s_wait_xcnt 0x0
	s_or_b32 exec_lo, exec_lo, s0
	v_subrev_nc_u32_e32 v72, s15, v71
	s_delay_alu instid0(VALU_DEP_1) | instskip(NEXT) | instid1(VALU_DEP_1)
	v_sub_nc_u32_e32 v0, 0, v72
	v_max_i32_e32 v0, v72, v0
	s_delay_alu instid0(VALU_DEP_1) | instskip(NEXT) | instid1(VALU_DEP_1)
	v_mul_u64_e32 v[14:15], s[18:19], v[0:1]
	v_mul_lo_u32 v14, v15, s21
	s_delay_alu instid0(VALU_DEP_1) | instskip(NEXT) | instid1(VALU_DEP_1)
	v_dual_sub_nc_u32 v0, v0, v14 :: v_dual_add_nc_u32 v14, 1, v15
	v_cmp_le_u32_e64 s0, s21, v0
	s_delay_alu instid0(VALU_DEP_1) | instskip(SKIP_1) | instid1(VALU_DEP_1)
	v_dual_cndmask_b32 v14, v15, v14, s0 :: v_dual_ashrrev_i32 v15, 31, v72
	v_subrev_nc_u32_e32 v16, s21, v0
	v_dual_cndmask_b32 v0, v0, v16, s0 :: v_dual_add_nc_u32 v16, 1, v14
	s_delay_alu instid0(VALU_DEP_1) | instskip(NEXT) | instid1(VALU_DEP_1)
	v_cmp_le_u32_e64 s0, s21, v0
	v_dual_cndmask_b32 v0, v14, v16, s0 :: v_dual_bitop2_b32 v15, s22, v15 bitop3:0x14
	s_delay_alu instid0(VALU_DEP_1) | instskip(NEXT) | instid1(VALU_DEP_1)
	v_xor_b32_e32 v0, v0, v15
	v_sub_nc_u32_e32 v0, v0, v15
	s_delay_alu instid0(VALU_DEP_1) | instskip(NEXT) | instid1(VALU_DEP_1)
	v_mul_lo_u32 v14, v0, s6
	v_sub_nc_u32_e32 v14, v72, v14
	s_delay_alu instid0(VALU_DEP_1) | instskip(SKIP_1) | instid1(VALU_DEP_2)
	v_mad_u32 v0, v0, s4, v14
	v_cmp_gt_i32_e64 s0, s4, v14
	v_cmp_gt_i32_e64 s1, s5, v0
	v_cmp_lt_i32_e64 s2, -1, v0
	s_and_b32 s0, s0, s1
	s_delay_alu instid0(SALU_CYCLE_1) | instskip(NEXT) | instid1(SALU_CYCLE_1)
	s_and_b32 s1, s0, s2
	s_and_saveexec_b32 s0, s1
	s_cbranch_execz .LBB0_15
; %bb.14:                               ;   in Loop: Header=BB0_3 Depth=1
	s_wait_kmcnt 0x0
	global_load_b64 v[10:11], v0, s[10:11] scale_offset
.LBB0_15:                               ;   in Loop: Header=BB0_3 Depth=1
	s_wait_xcnt 0x0
	s_or_b32 exec_lo, exec_lo, s0
	v_subrev_nc_u32_e32 v73, s15, v72
	s_delay_alu instid0(VALU_DEP_1) | instskip(NEXT) | instid1(VALU_DEP_1)
	v_sub_nc_u32_e32 v0, 0, v73
	v_max_i32_e32 v0, v73, v0
	s_delay_alu instid0(VALU_DEP_1) | instskip(NEXT) | instid1(VALU_DEP_1)
	v_mul_u64_e32 v[14:15], s[18:19], v[0:1]
	v_mul_lo_u32 v14, v15, s21
	s_delay_alu instid0(VALU_DEP_1) | instskip(NEXT) | instid1(VALU_DEP_1)
	v_dual_sub_nc_u32 v0, v0, v14 :: v_dual_add_nc_u32 v14, 1, v15
	v_cmp_le_u32_e64 s0, s21, v0
	s_delay_alu instid0(VALU_DEP_1) | instskip(SKIP_1) | instid1(VALU_DEP_1)
	v_dual_cndmask_b32 v14, v15, v14, s0 :: v_dual_ashrrev_i32 v15, 31, v73
	v_subrev_nc_u32_e32 v16, s21, v0
	v_dual_cndmask_b32 v0, v0, v16, s0 :: v_dual_add_nc_u32 v16, 1, v14
	s_delay_alu instid0(VALU_DEP_1) | instskip(NEXT) | instid1(VALU_DEP_1)
	v_cmp_le_u32_e64 s0, s21, v0
	v_dual_cndmask_b32 v0, v14, v16, s0 :: v_dual_bitop2_b32 v15, s22, v15 bitop3:0x14
	v_mov_b64_e32 v[16:17], 0
	s_delay_alu instid0(VALU_DEP_2) | instskip(NEXT) | instid1(VALU_DEP_1)
	v_xor_b32_e32 v0, v0, v15
	v_sub_nc_u32_e32 v0, v0, v15
	s_delay_alu instid0(VALU_DEP_1) | instskip(NEXT) | instid1(VALU_DEP_1)
	v_mul_lo_u32 v14, v0, s6
	v_sub_nc_u32_e32 v14, v73, v14
	s_delay_alu instid0(VALU_DEP_1) | instskip(SKIP_2) | instid1(VALU_DEP_3)
	v_mad_u32 v0, v0, s4, v14
	v_cmp_gt_i32_e64 s0, s4, v14
	v_mov_b64_e32 v[14:15], 0
	v_cmp_gt_i32_e64 s2, s5, v0
	v_cmp_lt_i32_e64 s1, -1, v0
	s_and_b32 s0, s0, s2
	s_delay_alu instid0(SALU_CYCLE_1) | instskip(NEXT) | instid1(SALU_CYCLE_1)
	s_and_b32 s1, s0, s1
	s_and_saveexec_b32 s0, s1
	s_cbranch_execz .LBB0_17
; %bb.16:                               ;   in Loop: Header=BB0_3 Depth=1
	s_wait_kmcnt 0x0
	global_load_b64 v[16:17], v0, s[10:11] scale_offset
.LBB0_17:                               ;   in Loop: Header=BB0_3 Depth=1
	s_wait_xcnt 0x0
	s_or_b32 exec_lo, exec_lo, s0
	v_subrev_nc_u32_e32 v74, s15, v73
	s_delay_alu instid0(VALU_DEP_1) | instskip(NEXT) | instid1(VALU_DEP_1)
	v_sub_nc_u32_e32 v0, 0, v74
	v_max_i32_e32 v0, v74, v0
	s_delay_alu instid0(VALU_DEP_1) | instskip(NEXT) | instid1(VALU_DEP_1)
	v_mul_u64_e32 v[18:19], s[18:19], v[0:1]
	v_mul_lo_u32 v18, v19, s21
	s_delay_alu instid0(VALU_DEP_1) | instskip(NEXT) | instid1(VALU_DEP_1)
	v_dual_sub_nc_u32 v0, v0, v18 :: v_dual_add_nc_u32 v18, 1, v19
	v_subrev_nc_u32_e32 v20, s21, v0
	v_cmp_le_u32_e64 s0, s21, v0
	s_delay_alu instid0(VALU_DEP_1) | instskip(NEXT) | instid1(VALU_DEP_3)
	v_cndmask_b32_e64 v18, v19, v18, s0
	v_dual_ashrrev_i32 v19, 31, v74 :: v_dual_cndmask_b32 v0, v0, v20, s0
	s_delay_alu instid0(VALU_DEP_2) | instskip(NEXT) | instid1(VALU_DEP_2)
	v_add_nc_u32_e32 v20, 1, v18
	v_cmp_le_u32_e64 s0, s21, v0
	s_delay_alu instid0(VALU_DEP_1) | instskip(NEXT) | instid1(VALU_DEP_1)
	v_dual_cndmask_b32 v0, v18, v20, s0 :: v_dual_bitop2_b32 v19, s22, v19 bitop3:0x14
	v_xor_b32_e32 v0, v0, v19
	s_delay_alu instid0(VALU_DEP_1) | instskip(NEXT) | instid1(VALU_DEP_1)
	v_sub_nc_u32_e32 v0, v0, v19
	v_mul_lo_u32 v18, v0, s6
	s_delay_alu instid0(VALU_DEP_1) | instskip(NEXT) | instid1(VALU_DEP_1)
	v_sub_nc_u32_e32 v18, v74, v18
	v_mad_u32 v0, v0, s4, v18
	v_cmp_gt_i32_e64 s0, s4, v18
	s_delay_alu instid0(VALU_DEP_2) | instskip(SKIP_2) | instid1(SALU_CYCLE_1)
	v_cmp_gt_i32_e64 s1, s5, v0
	v_cmp_lt_i32_e64 s2, -1, v0
	s_and_b32 s0, s0, s1
	s_and_b32 s1, s0, s2
	s_delay_alu instid0(SALU_CYCLE_1)
	s_and_saveexec_b32 s0, s1
	s_cbranch_execz .LBB0_19
; %bb.18:                               ;   in Loop: Header=BB0_3 Depth=1
	s_wait_kmcnt 0x0
	global_load_b64 v[14:15], v0, s[10:11] scale_offset
.LBB0_19:                               ;   in Loop: Header=BB0_3 Depth=1
	s_wait_xcnt 0x0
	s_or_b32 exec_lo, exec_lo, s0
	v_subrev_nc_u32_e32 v75, s15, v74
	s_delay_alu instid0(VALU_DEP_1) | instskip(NEXT) | instid1(VALU_DEP_1)
	v_sub_nc_u32_e32 v0, 0, v75
	v_max_i32_e32 v0, v75, v0
	s_delay_alu instid0(VALU_DEP_1) | instskip(NEXT) | instid1(VALU_DEP_1)
	v_mul_u64_e32 v[18:19], s[18:19], v[0:1]
	v_mul_lo_u32 v18, v19, s21
	s_delay_alu instid0(VALU_DEP_1) | instskip(NEXT) | instid1(VALU_DEP_1)
	v_dual_sub_nc_u32 v0, v0, v18 :: v_dual_add_nc_u32 v18, 1, v19
	v_cmp_le_u32_e64 s0, s21, v0
	s_delay_alu instid0(VALU_DEP_1) | instskip(SKIP_1) | instid1(VALU_DEP_1)
	v_dual_cndmask_b32 v18, v19, v18, s0 :: v_dual_ashrrev_i32 v19, 31, v75
	v_subrev_nc_u32_e32 v20, s21, v0
	v_dual_cndmask_b32 v0, v0, v20, s0 :: v_dual_add_nc_u32 v20, 1, v18
	s_delay_alu instid0(VALU_DEP_1) | instskip(NEXT) | instid1(VALU_DEP_1)
	v_cmp_le_u32_e64 s0, s21, v0
	v_dual_cndmask_b32 v0, v18, v20, s0 :: v_dual_bitop2_b32 v19, s22, v19 bitop3:0x14
	v_mov_b64_e32 v[20:21], 0
	s_delay_alu instid0(VALU_DEP_2) | instskip(NEXT) | instid1(VALU_DEP_1)
	v_xor_b32_e32 v0, v0, v19
	v_sub_nc_u32_e32 v0, v0, v19
	s_delay_alu instid0(VALU_DEP_1) | instskip(NEXT) | instid1(VALU_DEP_1)
	v_mul_lo_u32 v18, v0, s6
	v_sub_nc_u32_e32 v18, v75, v18
	s_delay_alu instid0(VALU_DEP_1) | instskip(SKIP_2) | instid1(VALU_DEP_3)
	v_mad_u32 v0, v0, s4, v18
	v_cmp_gt_i32_e64 s0, s4, v18
	v_mov_b64_e32 v[18:19], 0
	v_cmp_gt_i32_e64 s2, s5, v0
	v_cmp_lt_i32_e64 s1, -1, v0
	s_and_b32 s0, s0, s2
	s_delay_alu instid0(SALU_CYCLE_1) | instskip(NEXT) | instid1(SALU_CYCLE_1)
	s_and_b32 s1, s0, s1
	s_and_saveexec_b32 s0, s1
	s_cbranch_execz .LBB0_21
; %bb.20:                               ;   in Loop: Header=BB0_3 Depth=1
	s_wait_kmcnt 0x0
	global_load_b64 v[20:21], v0, s[10:11] scale_offset
.LBB0_21:                               ;   in Loop: Header=BB0_3 Depth=1
	s_wait_xcnt 0x0
	s_or_b32 exec_lo, exec_lo, s0
	v_subrev_nc_u32_e32 v76, s15, v75
	s_delay_alu instid0(VALU_DEP_1) | instskip(NEXT) | instid1(VALU_DEP_1)
	v_sub_nc_u32_e32 v0, 0, v76
	v_max_i32_e32 v0, v76, v0
	s_delay_alu instid0(VALU_DEP_1) | instskip(NEXT) | instid1(VALU_DEP_1)
	v_mul_u64_e32 v[22:23], s[18:19], v[0:1]
	v_mul_lo_u32 v22, v23, s21
	s_delay_alu instid0(VALU_DEP_1) | instskip(NEXT) | instid1(VALU_DEP_1)
	v_dual_sub_nc_u32 v0, v0, v22 :: v_dual_add_nc_u32 v22, 1, v23
	v_cmp_le_u32_e64 s0, s21, v0
	s_delay_alu instid0(VALU_DEP_1) | instskip(SKIP_1) | instid1(VALU_DEP_1)
	v_dual_cndmask_b32 v22, v23, v22, s0 :: v_dual_ashrrev_i32 v23, 31, v76
	v_subrev_nc_u32_e32 v24, s21, v0
	v_dual_cndmask_b32 v0, v0, v24, s0 :: v_dual_add_nc_u32 v24, 1, v22
	s_delay_alu instid0(VALU_DEP_1) | instskip(NEXT) | instid1(VALU_DEP_1)
	v_cmp_le_u32_e64 s0, s21, v0
	v_dual_cndmask_b32 v0, v22, v24, s0 :: v_dual_bitop2_b32 v23, s22, v23 bitop3:0x14
	s_delay_alu instid0(VALU_DEP_1) | instskip(NEXT) | instid1(VALU_DEP_1)
	v_xor_b32_e32 v0, v0, v23
	v_sub_nc_u32_e32 v0, v0, v23
	s_delay_alu instid0(VALU_DEP_1) | instskip(NEXT) | instid1(VALU_DEP_1)
	v_mul_lo_u32 v22, v0, s6
	v_sub_nc_u32_e32 v22, v76, v22
	s_delay_alu instid0(VALU_DEP_1) | instskip(SKIP_1) | instid1(VALU_DEP_2)
	v_mad_u32 v0, v0, s4, v22
	v_cmp_gt_i32_e64 s0, s4, v22
	v_cmp_gt_i32_e64 s1, s5, v0
	v_cmp_lt_i32_e64 s2, -1, v0
	s_and_b32 s0, s0, s1
	s_delay_alu instid0(SALU_CYCLE_1) | instskip(NEXT) | instid1(SALU_CYCLE_1)
	s_and_b32 s1, s0, s2
	s_and_saveexec_b32 s0, s1
	s_cbranch_execz .LBB0_23
; %bb.22:                               ;   in Loop: Header=BB0_3 Depth=1
	s_wait_kmcnt 0x0
	global_load_b64 v[18:19], v0, s[10:11] scale_offset
.LBB0_23:                               ;   in Loop: Header=BB0_3 Depth=1
	s_wait_xcnt 0x0
	s_or_b32 exec_lo, exec_lo, s0
	v_subrev_nc_u32_e32 v77, s15, v76
	s_delay_alu instid0(VALU_DEP_1) | instskip(NEXT) | instid1(VALU_DEP_1)
	v_sub_nc_u32_e32 v0, 0, v77
	v_max_i32_e32 v0, v77, v0
	s_delay_alu instid0(VALU_DEP_1) | instskip(NEXT) | instid1(VALU_DEP_1)
	v_mul_u64_e32 v[22:23], s[18:19], v[0:1]
	v_mul_lo_u32 v22, v23, s21
	s_delay_alu instid0(VALU_DEP_1) | instskip(NEXT) | instid1(VALU_DEP_1)
	v_dual_sub_nc_u32 v0, v0, v22 :: v_dual_add_nc_u32 v22, 1, v23
	v_cmp_le_u32_e64 s0, s21, v0
	s_delay_alu instid0(VALU_DEP_1) | instskip(SKIP_1) | instid1(VALU_DEP_1)
	v_dual_cndmask_b32 v22, v23, v22, s0 :: v_dual_ashrrev_i32 v23, 31, v77
	v_subrev_nc_u32_e32 v24, s21, v0
	v_dual_cndmask_b32 v0, v0, v24, s0 :: v_dual_add_nc_u32 v24, 1, v22
	s_delay_alu instid0(VALU_DEP_1) | instskip(NEXT) | instid1(VALU_DEP_1)
	v_cmp_le_u32_e64 s0, s21, v0
	v_dual_cndmask_b32 v0, v22, v24, s0 :: v_dual_bitop2_b32 v23, s22, v23 bitop3:0x14
	v_mov_b64_e32 v[24:25], 0
	s_delay_alu instid0(VALU_DEP_2) | instskip(NEXT) | instid1(VALU_DEP_1)
	v_xor_b32_e32 v0, v0, v23
	v_sub_nc_u32_e32 v0, v0, v23
	s_delay_alu instid0(VALU_DEP_1) | instskip(NEXT) | instid1(VALU_DEP_1)
	v_mul_lo_u32 v22, v0, s6
	v_sub_nc_u32_e32 v22, v77, v22
	s_delay_alu instid0(VALU_DEP_1) | instskip(SKIP_2) | instid1(VALU_DEP_3)
	v_mad_u32 v0, v0, s4, v22
	v_cmp_gt_i32_e64 s0, s4, v22
	v_mov_b64_e32 v[22:23], 0
	v_cmp_gt_i32_e64 s2, s5, v0
	v_cmp_lt_i32_e64 s1, -1, v0
	s_and_b32 s0, s0, s2
	s_delay_alu instid0(SALU_CYCLE_1) | instskip(NEXT) | instid1(SALU_CYCLE_1)
	s_and_b32 s1, s0, s1
	s_and_saveexec_b32 s0, s1
	s_cbranch_execz .LBB0_25
; %bb.24:                               ;   in Loop: Header=BB0_3 Depth=1
	s_wait_kmcnt 0x0
	global_load_b64 v[24:25], v0, s[10:11] scale_offset
.LBB0_25:                               ;   in Loop: Header=BB0_3 Depth=1
	s_wait_xcnt 0x0
	s_or_b32 exec_lo, exec_lo, s0
	v_subrev_nc_u32_e32 v78, s15, v77
	s_delay_alu instid0(VALU_DEP_1) | instskip(NEXT) | instid1(VALU_DEP_1)
	v_sub_nc_u32_e32 v0, 0, v78
	v_max_i32_e32 v0, v78, v0
	s_delay_alu instid0(VALU_DEP_1) | instskip(NEXT) | instid1(VALU_DEP_1)
	v_mul_u64_e32 v[26:27], s[18:19], v[0:1]
	v_mul_lo_u32 v26, v27, s21
	s_delay_alu instid0(VALU_DEP_1) | instskip(NEXT) | instid1(VALU_DEP_1)
	v_dual_sub_nc_u32 v0, v0, v26 :: v_dual_add_nc_u32 v26, 1, v27
	v_subrev_nc_u32_e32 v28, s21, v0
	v_cmp_le_u32_e64 s0, s21, v0
	s_delay_alu instid0(VALU_DEP_1) | instskip(NEXT) | instid1(VALU_DEP_3)
	v_cndmask_b32_e64 v26, v27, v26, s0
	v_dual_ashrrev_i32 v27, 31, v78 :: v_dual_cndmask_b32 v0, v0, v28, s0
	s_delay_alu instid0(VALU_DEP_2) | instskip(NEXT) | instid1(VALU_DEP_2)
	v_add_nc_u32_e32 v28, 1, v26
	v_cmp_le_u32_e64 s0, s21, v0
	s_delay_alu instid0(VALU_DEP_1) | instskip(NEXT) | instid1(VALU_DEP_1)
	v_dual_cndmask_b32 v0, v26, v28, s0 :: v_dual_bitop2_b32 v27, s22, v27 bitop3:0x14
	v_xor_b32_e32 v0, v0, v27
	s_delay_alu instid0(VALU_DEP_1) | instskip(NEXT) | instid1(VALU_DEP_1)
	v_sub_nc_u32_e32 v0, v0, v27
	v_mul_lo_u32 v26, v0, s6
	s_delay_alu instid0(VALU_DEP_1) | instskip(NEXT) | instid1(VALU_DEP_1)
	v_sub_nc_u32_e32 v26, v78, v26
	v_mad_u32 v0, v0, s4, v26
	v_cmp_gt_i32_e64 s0, s4, v26
	s_delay_alu instid0(VALU_DEP_2) | instskip(SKIP_2) | instid1(SALU_CYCLE_1)
	v_cmp_gt_i32_e64 s1, s5, v0
	v_cmp_lt_i32_e64 s2, -1, v0
	s_and_b32 s0, s0, s1
	s_and_b32 s1, s0, s2
	s_delay_alu instid0(SALU_CYCLE_1)
	s_and_saveexec_b32 s0, s1
	s_cbranch_execz .LBB0_27
; %bb.26:                               ;   in Loop: Header=BB0_3 Depth=1
	s_wait_kmcnt 0x0
	global_load_b64 v[22:23], v0, s[10:11] scale_offset
.LBB0_27:                               ;   in Loop: Header=BB0_3 Depth=1
	s_wait_xcnt 0x0
	s_or_b32 exec_lo, exec_lo, s0
	v_subrev_nc_u32_e32 v79, s15, v78
	s_delay_alu instid0(VALU_DEP_1) | instskip(NEXT) | instid1(VALU_DEP_1)
	v_sub_nc_u32_e32 v0, 0, v79
	v_max_i32_e32 v0, v79, v0
	s_delay_alu instid0(VALU_DEP_1) | instskip(NEXT) | instid1(VALU_DEP_1)
	v_mul_u64_e32 v[26:27], s[18:19], v[0:1]
	v_mul_lo_u32 v26, v27, s21
	s_delay_alu instid0(VALU_DEP_1) | instskip(NEXT) | instid1(VALU_DEP_1)
	v_dual_sub_nc_u32 v0, v0, v26 :: v_dual_add_nc_u32 v26, 1, v27
	v_cmp_le_u32_e64 s0, s21, v0
	s_delay_alu instid0(VALU_DEP_1) | instskip(SKIP_1) | instid1(VALU_DEP_1)
	v_dual_cndmask_b32 v26, v27, v26, s0 :: v_dual_ashrrev_i32 v27, 31, v79
	v_subrev_nc_u32_e32 v28, s21, v0
	v_dual_cndmask_b32 v0, v0, v28, s0 :: v_dual_add_nc_u32 v28, 1, v26
	s_delay_alu instid0(VALU_DEP_1) | instskip(NEXT) | instid1(VALU_DEP_1)
	v_cmp_le_u32_e64 s0, s21, v0
	v_dual_cndmask_b32 v0, v26, v28, s0 :: v_dual_bitop2_b32 v27, s22, v27 bitop3:0x14
	v_mov_b64_e32 v[28:29], 0
	s_delay_alu instid0(VALU_DEP_2) | instskip(NEXT) | instid1(VALU_DEP_1)
	v_xor_b32_e32 v0, v0, v27
	v_sub_nc_u32_e32 v0, v0, v27
	s_delay_alu instid0(VALU_DEP_1) | instskip(NEXT) | instid1(VALU_DEP_1)
	v_mul_lo_u32 v26, v0, s6
	v_sub_nc_u32_e32 v26, v79, v26
	s_delay_alu instid0(VALU_DEP_1) | instskip(SKIP_2) | instid1(VALU_DEP_3)
	v_mad_u32 v0, v0, s4, v26
	v_cmp_gt_i32_e64 s0, s4, v26
	v_mov_b64_e32 v[26:27], 0
	v_cmp_gt_i32_e64 s2, s5, v0
	v_cmp_lt_i32_e64 s1, -1, v0
	s_and_b32 s0, s0, s2
	s_delay_alu instid0(SALU_CYCLE_1) | instskip(NEXT) | instid1(SALU_CYCLE_1)
	s_and_b32 s1, s0, s1
	s_and_saveexec_b32 s0, s1
	s_cbranch_execz .LBB0_29
; %bb.28:                               ;   in Loop: Header=BB0_3 Depth=1
	s_wait_kmcnt 0x0
	global_load_b64 v[28:29], v0, s[10:11] scale_offset
.LBB0_29:                               ;   in Loop: Header=BB0_3 Depth=1
	s_wait_xcnt 0x0
	s_or_b32 exec_lo, exec_lo, s0
	v_subrev_nc_u32_e32 v80, s15, v79
	s_delay_alu instid0(VALU_DEP_1) | instskip(NEXT) | instid1(VALU_DEP_1)
	v_sub_nc_u32_e32 v0, 0, v80
	v_max_i32_e32 v0, v80, v0
	s_delay_alu instid0(VALU_DEP_1) | instskip(NEXT) | instid1(VALU_DEP_1)
	v_mul_u64_e32 v[30:31], s[18:19], v[0:1]
	v_mul_lo_u32 v30, v31, s21
	s_delay_alu instid0(VALU_DEP_1) | instskip(NEXT) | instid1(VALU_DEP_1)
	v_dual_sub_nc_u32 v0, v0, v30 :: v_dual_add_nc_u32 v30, 1, v31
	v_cmp_le_u32_e64 s0, s21, v0
	s_delay_alu instid0(VALU_DEP_1) | instskip(SKIP_1) | instid1(VALU_DEP_1)
	v_dual_cndmask_b32 v30, v31, v30, s0 :: v_dual_ashrrev_i32 v31, 31, v80
	v_subrev_nc_u32_e32 v32, s21, v0
	v_dual_cndmask_b32 v0, v0, v32, s0 :: v_dual_add_nc_u32 v32, 1, v30
	s_delay_alu instid0(VALU_DEP_1) | instskip(NEXT) | instid1(VALU_DEP_1)
	v_cmp_le_u32_e64 s0, s21, v0
	v_dual_cndmask_b32 v0, v30, v32, s0 :: v_dual_bitop2_b32 v31, s22, v31 bitop3:0x14
	s_delay_alu instid0(VALU_DEP_1) | instskip(NEXT) | instid1(VALU_DEP_1)
	v_xor_b32_e32 v0, v0, v31
	v_sub_nc_u32_e32 v0, v0, v31
	s_delay_alu instid0(VALU_DEP_1) | instskip(NEXT) | instid1(VALU_DEP_1)
	v_mul_lo_u32 v30, v0, s6
	v_sub_nc_u32_e32 v30, v80, v30
	s_delay_alu instid0(VALU_DEP_1) | instskip(SKIP_1) | instid1(VALU_DEP_2)
	v_mad_u32 v0, v0, s4, v30
	v_cmp_gt_i32_e64 s0, s4, v30
	v_cmp_gt_i32_e64 s1, s5, v0
	v_cmp_lt_i32_e64 s2, -1, v0
	s_and_b32 s0, s0, s1
	s_delay_alu instid0(SALU_CYCLE_1) | instskip(NEXT) | instid1(SALU_CYCLE_1)
	s_and_b32 s1, s0, s2
	s_and_saveexec_b32 s0, s1
	s_cbranch_execz .LBB0_31
; %bb.30:                               ;   in Loop: Header=BB0_3 Depth=1
	s_wait_kmcnt 0x0
	global_load_b64 v[26:27], v0, s[10:11] scale_offset
.LBB0_31:                               ;   in Loop: Header=BB0_3 Depth=1
	s_wait_xcnt 0x0
	s_or_b32 exec_lo, exec_lo, s0
	v_subrev_nc_u32_e32 v81, s15, v80
	s_delay_alu instid0(VALU_DEP_1) | instskip(NEXT) | instid1(VALU_DEP_1)
	v_sub_nc_u32_e32 v0, 0, v81
	v_max_i32_e32 v0, v81, v0
	s_delay_alu instid0(VALU_DEP_1) | instskip(NEXT) | instid1(VALU_DEP_1)
	v_mul_u64_e32 v[30:31], s[18:19], v[0:1]
	v_mul_lo_u32 v30, v31, s21
	s_delay_alu instid0(VALU_DEP_1) | instskip(NEXT) | instid1(VALU_DEP_1)
	v_dual_sub_nc_u32 v0, v0, v30 :: v_dual_add_nc_u32 v30, 1, v31
	v_cmp_le_u32_e64 s0, s21, v0
	s_delay_alu instid0(VALU_DEP_1) | instskip(SKIP_1) | instid1(VALU_DEP_1)
	v_dual_cndmask_b32 v30, v31, v30, s0 :: v_dual_ashrrev_i32 v31, 31, v81
	v_subrev_nc_u32_e32 v32, s21, v0
	v_dual_cndmask_b32 v0, v0, v32, s0 :: v_dual_add_nc_u32 v32, 1, v30
	s_delay_alu instid0(VALU_DEP_1) | instskip(NEXT) | instid1(VALU_DEP_1)
	v_cmp_le_u32_e64 s0, s21, v0
	v_dual_cndmask_b32 v0, v30, v32, s0 :: v_dual_bitop2_b32 v31, s22, v31 bitop3:0x14
	v_mov_b64_e32 v[32:33], 0
	s_delay_alu instid0(VALU_DEP_2) | instskip(NEXT) | instid1(VALU_DEP_1)
	v_xor_b32_e32 v0, v0, v31
	v_sub_nc_u32_e32 v0, v0, v31
	s_delay_alu instid0(VALU_DEP_1) | instskip(NEXT) | instid1(VALU_DEP_1)
	v_mul_lo_u32 v30, v0, s6
	v_sub_nc_u32_e32 v30, v81, v30
	s_delay_alu instid0(VALU_DEP_1) | instskip(SKIP_2) | instid1(VALU_DEP_3)
	v_mad_u32 v0, v0, s4, v30
	v_cmp_gt_i32_e64 s0, s4, v30
	v_mov_b64_e32 v[30:31], 0
	v_cmp_gt_i32_e64 s2, s5, v0
	v_cmp_lt_i32_e64 s1, -1, v0
	s_and_b32 s0, s0, s2
	s_delay_alu instid0(SALU_CYCLE_1) | instskip(NEXT) | instid1(SALU_CYCLE_1)
	s_and_b32 s1, s0, s1
	s_and_saveexec_b32 s0, s1
	s_cbranch_execz .LBB0_33
; %bb.32:                               ;   in Loop: Header=BB0_3 Depth=1
	s_wait_kmcnt 0x0
	global_load_b64 v[32:33], v0, s[10:11] scale_offset
.LBB0_33:                               ;   in Loop: Header=BB0_3 Depth=1
	s_wait_xcnt 0x0
	s_or_b32 exec_lo, exec_lo, s0
	v_subrev_nc_u32_e32 v82, s15, v81
	s_delay_alu instid0(VALU_DEP_1) | instskip(NEXT) | instid1(VALU_DEP_1)
	v_sub_nc_u32_e32 v0, 0, v82
	v_max_i32_e32 v0, v82, v0
	s_delay_alu instid0(VALU_DEP_1) | instskip(NEXT) | instid1(VALU_DEP_1)
	v_mul_u64_e32 v[34:35], s[18:19], v[0:1]
	v_mul_lo_u32 v34, v35, s21
	s_delay_alu instid0(VALU_DEP_1) | instskip(NEXT) | instid1(VALU_DEP_1)
	v_dual_sub_nc_u32 v0, v0, v34 :: v_dual_add_nc_u32 v34, 1, v35
	v_subrev_nc_u32_e32 v36, s21, v0
	v_cmp_le_u32_e64 s0, s21, v0
	s_delay_alu instid0(VALU_DEP_1) | instskip(NEXT) | instid1(VALU_DEP_3)
	v_cndmask_b32_e64 v34, v35, v34, s0
	v_dual_ashrrev_i32 v35, 31, v82 :: v_dual_cndmask_b32 v0, v0, v36, s0
	s_delay_alu instid0(VALU_DEP_2) | instskip(NEXT) | instid1(VALU_DEP_2)
	v_add_nc_u32_e32 v36, 1, v34
	v_cmp_le_u32_e64 s0, s21, v0
	s_delay_alu instid0(VALU_DEP_1) | instskip(NEXT) | instid1(VALU_DEP_1)
	v_dual_cndmask_b32 v0, v34, v36, s0 :: v_dual_bitop2_b32 v35, s22, v35 bitop3:0x14
	v_xor_b32_e32 v0, v0, v35
	s_delay_alu instid0(VALU_DEP_1) | instskip(NEXT) | instid1(VALU_DEP_1)
	v_sub_nc_u32_e32 v0, v0, v35
	v_mul_lo_u32 v34, v0, s6
	s_delay_alu instid0(VALU_DEP_1) | instskip(NEXT) | instid1(VALU_DEP_1)
	v_sub_nc_u32_e32 v34, v82, v34
	v_mad_u32 v0, v0, s4, v34
	v_cmp_gt_i32_e64 s0, s4, v34
	s_delay_alu instid0(VALU_DEP_2) | instskip(SKIP_2) | instid1(SALU_CYCLE_1)
	v_cmp_gt_i32_e64 s1, s5, v0
	v_cmp_lt_i32_e64 s2, -1, v0
	s_and_b32 s0, s0, s1
	s_and_b32 s1, s0, s2
	s_delay_alu instid0(SALU_CYCLE_1)
	s_and_saveexec_b32 s0, s1
	s_cbranch_execz .LBB0_35
; %bb.34:                               ;   in Loop: Header=BB0_3 Depth=1
	s_wait_kmcnt 0x0
	global_load_b64 v[30:31], v0, s[10:11] scale_offset
.LBB0_35:                               ;   in Loop: Header=BB0_3 Depth=1
	s_wait_xcnt 0x0
	s_or_b32 exec_lo, exec_lo, s0
	v_subrev_nc_u32_e32 v83, s15, v82
	s_delay_alu instid0(VALU_DEP_1) | instskip(NEXT) | instid1(VALU_DEP_1)
	v_sub_nc_u32_e32 v0, 0, v83
	v_max_i32_e32 v0, v83, v0
	s_delay_alu instid0(VALU_DEP_1) | instskip(NEXT) | instid1(VALU_DEP_1)
	v_mul_u64_e32 v[34:35], s[18:19], v[0:1]
	v_mul_lo_u32 v34, v35, s21
	s_delay_alu instid0(VALU_DEP_1) | instskip(NEXT) | instid1(VALU_DEP_1)
	v_dual_sub_nc_u32 v0, v0, v34 :: v_dual_add_nc_u32 v34, 1, v35
	v_cmp_le_u32_e64 s0, s21, v0
	s_delay_alu instid0(VALU_DEP_1) | instskip(SKIP_1) | instid1(VALU_DEP_1)
	v_dual_cndmask_b32 v34, v35, v34, s0 :: v_dual_ashrrev_i32 v35, 31, v83
	v_subrev_nc_u32_e32 v36, s21, v0
	v_dual_cndmask_b32 v0, v0, v36, s0 :: v_dual_add_nc_u32 v36, 1, v34
	s_delay_alu instid0(VALU_DEP_1) | instskip(NEXT) | instid1(VALU_DEP_1)
	v_cmp_le_u32_e64 s0, s21, v0
	v_dual_cndmask_b32 v0, v34, v36, s0 :: v_dual_bitop2_b32 v35, s22, v35 bitop3:0x14
	v_mov_b64_e32 v[36:37], 0
	s_delay_alu instid0(VALU_DEP_2) | instskip(NEXT) | instid1(VALU_DEP_1)
	v_xor_b32_e32 v0, v0, v35
	v_sub_nc_u32_e32 v0, v0, v35
	s_delay_alu instid0(VALU_DEP_1) | instskip(NEXT) | instid1(VALU_DEP_1)
	v_mul_lo_u32 v34, v0, s6
	v_sub_nc_u32_e32 v34, v83, v34
	s_delay_alu instid0(VALU_DEP_1) | instskip(SKIP_2) | instid1(VALU_DEP_3)
	v_mad_u32 v0, v0, s4, v34
	v_cmp_gt_i32_e64 s0, s4, v34
	v_mov_b64_e32 v[34:35], 0
	v_cmp_gt_i32_e64 s2, s5, v0
	v_cmp_lt_i32_e64 s1, -1, v0
	s_and_b32 s0, s0, s2
	s_delay_alu instid0(SALU_CYCLE_1) | instskip(NEXT) | instid1(SALU_CYCLE_1)
	s_and_b32 s1, s0, s1
	s_and_saveexec_b32 s0, s1
	s_cbranch_execz .LBB0_37
; %bb.36:                               ;   in Loop: Header=BB0_3 Depth=1
	s_wait_kmcnt 0x0
	global_load_b64 v[36:37], v0, s[10:11] scale_offset
.LBB0_37:                               ;   in Loop: Header=BB0_3 Depth=1
	s_wait_xcnt 0x0
	s_or_b32 exec_lo, exec_lo, s0
	v_subrev_nc_u32_e32 v84, s15, v83
	s_delay_alu instid0(VALU_DEP_1) | instskip(NEXT) | instid1(VALU_DEP_1)
	v_sub_nc_u32_e32 v0, 0, v84
	v_max_i32_e32 v0, v84, v0
	s_delay_alu instid0(VALU_DEP_1) | instskip(NEXT) | instid1(VALU_DEP_1)
	v_mul_u64_e32 v[38:39], s[18:19], v[0:1]
	v_mul_lo_u32 v38, v39, s21
	s_delay_alu instid0(VALU_DEP_1) | instskip(NEXT) | instid1(VALU_DEP_1)
	v_dual_sub_nc_u32 v0, v0, v38 :: v_dual_add_nc_u32 v38, 1, v39
	v_cmp_le_u32_e64 s0, s21, v0
	s_delay_alu instid0(VALU_DEP_1) | instskip(SKIP_1) | instid1(VALU_DEP_1)
	v_dual_cndmask_b32 v38, v39, v38, s0 :: v_dual_ashrrev_i32 v39, 31, v84
	v_subrev_nc_u32_e32 v40, s21, v0
	v_dual_cndmask_b32 v0, v0, v40, s0 :: v_dual_add_nc_u32 v40, 1, v38
	s_delay_alu instid0(VALU_DEP_1) | instskip(NEXT) | instid1(VALU_DEP_1)
	v_cmp_le_u32_e64 s0, s21, v0
	v_dual_cndmask_b32 v0, v38, v40, s0 :: v_dual_bitop2_b32 v39, s22, v39 bitop3:0x14
	s_delay_alu instid0(VALU_DEP_1) | instskip(NEXT) | instid1(VALU_DEP_1)
	v_xor_b32_e32 v0, v0, v39
	v_sub_nc_u32_e32 v0, v0, v39
	s_delay_alu instid0(VALU_DEP_1) | instskip(NEXT) | instid1(VALU_DEP_1)
	v_mul_lo_u32 v38, v0, s6
	v_sub_nc_u32_e32 v38, v84, v38
	s_delay_alu instid0(VALU_DEP_1) | instskip(SKIP_1) | instid1(VALU_DEP_2)
	v_mad_u32 v0, v0, s4, v38
	v_cmp_gt_i32_e64 s0, s4, v38
	v_cmp_gt_i32_e64 s1, s5, v0
	v_cmp_lt_i32_e64 s2, -1, v0
	s_and_b32 s0, s0, s1
	s_delay_alu instid0(SALU_CYCLE_1) | instskip(NEXT) | instid1(SALU_CYCLE_1)
	s_and_b32 s1, s0, s2
	s_and_saveexec_b32 s0, s1
	s_cbranch_execz .LBB0_39
; %bb.38:                               ;   in Loop: Header=BB0_3 Depth=1
	s_wait_kmcnt 0x0
	global_load_b64 v[34:35], v0, s[10:11] scale_offset
.LBB0_39:                               ;   in Loop: Header=BB0_3 Depth=1
	s_wait_xcnt 0x0
	s_or_b32 exec_lo, exec_lo, s0
	v_subrev_nc_u32_e32 v85, s15, v84
	s_delay_alu instid0(VALU_DEP_1) | instskip(NEXT) | instid1(VALU_DEP_1)
	v_sub_nc_u32_e32 v0, 0, v85
	v_max_i32_e32 v0, v85, v0
	s_delay_alu instid0(VALU_DEP_1) | instskip(NEXT) | instid1(VALU_DEP_1)
	v_mul_u64_e32 v[38:39], s[18:19], v[0:1]
	v_mul_lo_u32 v38, v39, s21
	s_delay_alu instid0(VALU_DEP_1) | instskip(NEXT) | instid1(VALU_DEP_1)
	v_dual_sub_nc_u32 v0, v0, v38 :: v_dual_add_nc_u32 v38, 1, v39
	v_cmp_le_u32_e64 s0, s21, v0
	s_delay_alu instid0(VALU_DEP_1) | instskip(SKIP_1) | instid1(VALU_DEP_1)
	v_dual_cndmask_b32 v38, v39, v38, s0 :: v_dual_ashrrev_i32 v39, 31, v85
	v_subrev_nc_u32_e32 v40, s21, v0
	v_dual_cndmask_b32 v0, v0, v40, s0 :: v_dual_add_nc_u32 v40, 1, v38
	s_delay_alu instid0(VALU_DEP_1) | instskip(NEXT) | instid1(VALU_DEP_1)
	v_cmp_le_u32_e64 s0, s21, v0
	v_dual_cndmask_b32 v0, v38, v40, s0 :: v_dual_bitop2_b32 v39, s22, v39 bitop3:0x14
	v_mov_b64_e32 v[40:41], 0
	s_delay_alu instid0(VALU_DEP_2) | instskip(NEXT) | instid1(VALU_DEP_1)
	v_xor_b32_e32 v0, v0, v39
	v_sub_nc_u32_e32 v0, v0, v39
	s_delay_alu instid0(VALU_DEP_1) | instskip(NEXT) | instid1(VALU_DEP_1)
	v_mul_lo_u32 v38, v0, s6
	v_sub_nc_u32_e32 v38, v85, v38
	s_delay_alu instid0(VALU_DEP_1) | instskip(SKIP_2) | instid1(VALU_DEP_3)
	v_mad_u32 v0, v0, s4, v38
	v_cmp_gt_i32_e64 s0, s4, v38
	v_mov_b64_e32 v[38:39], 0
	v_cmp_gt_i32_e64 s2, s5, v0
	v_cmp_lt_i32_e64 s1, -1, v0
	s_and_b32 s0, s0, s2
	s_delay_alu instid0(SALU_CYCLE_1) | instskip(NEXT) | instid1(SALU_CYCLE_1)
	s_and_b32 s1, s0, s1
	s_and_saveexec_b32 s0, s1
	s_cbranch_execz .LBB0_41
; %bb.40:                               ;   in Loop: Header=BB0_3 Depth=1
	s_wait_kmcnt 0x0
	global_load_b64 v[40:41], v0, s[10:11] scale_offset
.LBB0_41:                               ;   in Loop: Header=BB0_3 Depth=1
	s_wait_xcnt 0x0
	s_or_b32 exec_lo, exec_lo, s0
	v_subrev_nc_u32_e32 v86, s15, v85
	s_delay_alu instid0(VALU_DEP_1) | instskip(NEXT) | instid1(VALU_DEP_1)
	v_sub_nc_u32_e32 v0, 0, v86
	v_max_i32_e32 v0, v86, v0
	s_delay_alu instid0(VALU_DEP_1) | instskip(NEXT) | instid1(VALU_DEP_1)
	v_mul_u64_e32 v[42:43], s[18:19], v[0:1]
	v_mul_lo_u32 v42, v43, s21
	s_delay_alu instid0(VALU_DEP_1) | instskip(NEXT) | instid1(VALU_DEP_1)
	v_dual_sub_nc_u32 v0, v0, v42 :: v_dual_add_nc_u32 v42, 1, v43
	v_subrev_nc_u32_e32 v44, s21, v0
	v_cmp_le_u32_e64 s0, s21, v0
	s_delay_alu instid0(VALU_DEP_1) | instskip(NEXT) | instid1(VALU_DEP_3)
	v_cndmask_b32_e64 v42, v43, v42, s0
	v_dual_ashrrev_i32 v43, 31, v86 :: v_dual_cndmask_b32 v0, v0, v44, s0
	s_delay_alu instid0(VALU_DEP_2) | instskip(NEXT) | instid1(VALU_DEP_2)
	v_add_nc_u32_e32 v44, 1, v42
	v_cmp_le_u32_e64 s0, s21, v0
	s_delay_alu instid0(VALU_DEP_1) | instskip(NEXT) | instid1(VALU_DEP_1)
	v_dual_cndmask_b32 v0, v42, v44, s0 :: v_dual_bitop2_b32 v43, s22, v43 bitop3:0x14
	v_xor_b32_e32 v0, v0, v43
	s_delay_alu instid0(VALU_DEP_1) | instskip(NEXT) | instid1(VALU_DEP_1)
	v_sub_nc_u32_e32 v0, v0, v43
	v_mul_lo_u32 v42, v0, s6
	s_delay_alu instid0(VALU_DEP_1) | instskip(NEXT) | instid1(VALU_DEP_1)
	v_sub_nc_u32_e32 v42, v86, v42
	v_mad_u32 v0, v0, s4, v42
	v_cmp_gt_i32_e64 s0, s4, v42
	s_delay_alu instid0(VALU_DEP_2) | instskip(SKIP_2) | instid1(SALU_CYCLE_1)
	v_cmp_gt_i32_e64 s1, s5, v0
	v_cmp_lt_i32_e64 s2, -1, v0
	s_and_b32 s0, s0, s1
	s_and_b32 s1, s0, s2
	s_delay_alu instid0(SALU_CYCLE_1)
	s_and_saveexec_b32 s0, s1
	s_cbranch_execz .LBB0_43
; %bb.42:                               ;   in Loop: Header=BB0_3 Depth=1
	s_wait_kmcnt 0x0
	global_load_b64 v[38:39], v0, s[10:11] scale_offset
.LBB0_43:                               ;   in Loop: Header=BB0_3 Depth=1
	s_wait_xcnt 0x0
	s_or_b32 exec_lo, exec_lo, s0
	v_subrev_nc_u32_e32 v87, s15, v86
	s_delay_alu instid0(VALU_DEP_1) | instskip(NEXT) | instid1(VALU_DEP_1)
	v_sub_nc_u32_e32 v0, 0, v87
	v_max_i32_e32 v0, v87, v0
	s_delay_alu instid0(VALU_DEP_1) | instskip(NEXT) | instid1(VALU_DEP_1)
	v_mul_u64_e32 v[42:43], s[18:19], v[0:1]
	v_mul_lo_u32 v42, v43, s21
	s_delay_alu instid0(VALU_DEP_1) | instskip(NEXT) | instid1(VALU_DEP_1)
	v_dual_sub_nc_u32 v0, v0, v42 :: v_dual_add_nc_u32 v42, 1, v43
	v_cmp_le_u32_e64 s0, s21, v0
	s_delay_alu instid0(VALU_DEP_1) | instskip(SKIP_1) | instid1(VALU_DEP_1)
	v_dual_cndmask_b32 v42, v43, v42, s0 :: v_dual_ashrrev_i32 v43, 31, v87
	v_subrev_nc_u32_e32 v44, s21, v0
	v_dual_cndmask_b32 v0, v0, v44, s0 :: v_dual_add_nc_u32 v44, 1, v42
	s_delay_alu instid0(VALU_DEP_1) | instskip(NEXT) | instid1(VALU_DEP_1)
	v_cmp_le_u32_e64 s0, s21, v0
	v_dual_cndmask_b32 v0, v42, v44, s0 :: v_dual_bitop2_b32 v43, s22, v43 bitop3:0x14
	v_mov_b64_e32 v[44:45], 0
	s_delay_alu instid0(VALU_DEP_2) | instskip(NEXT) | instid1(VALU_DEP_1)
	v_xor_b32_e32 v0, v0, v43
	v_sub_nc_u32_e32 v0, v0, v43
	s_delay_alu instid0(VALU_DEP_1) | instskip(NEXT) | instid1(VALU_DEP_1)
	v_mul_lo_u32 v42, v0, s6
	v_sub_nc_u32_e32 v42, v87, v42
	s_delay_alu instid0(VALU_DEP_1) | instskip(SKIP_2) | instid1(VALU_DEP_3)
	v_mad_u32 v0, v0, s4, v42
	v_cmp_gt_i32_e64 s0, s4, v42
	v_mov_b64_e32 v[42:43], 0
	v_cmp_gt_i32_e64 s2, s5, v0
	v_cmp_lt_i32_e64 s1, -1, v0
	s_and_b32 s0, s0, s2
	s_delay_alu instid0(SALU_CYCLE_1) | instskip(NEXT) | instid1(SALU_CYCLE_1)
	s_and_b32 s1, s0, s1
	s_and_saveexec_b32 s0, s1
	s_cbranch_execz .LBB0_45
; %bb.44:                               ;   in Loop: Header=BB0_3 Depth=1
	s_wait_kmcnt 0x0
	global_load_b64 v[44:45], v0, s[10:11] scale_offset
.LBB0_45:                               ;   in Loop: Header=BB0_3 Depth=1
	s_wait_xcnt 0x0
	s_or_b32 exec_lo, exec_lo, s0
	v_subrev_nc_u32_e32 v88, s15, v87
	s_delay_alu instid0(VALU_DEP_1) | instskip(NEXT) | instid1(VALU_DEP_1)
	v_sub_nc_u32_e32 v0, 0, v88
	v_max_i32_e32 v0, v88, v0
	s_delay_alu instid0(VALU_DEP_1) | instskip(NEXT) | instid1(VALU_DEP_1)
	v_mul_u64_e32 v[46:47], s[18:19], v[0:1]
	v_mul_lo_u32 v46, v47, s21
	s_delay_alu instid0(VALU_DEP_1) | instskip(NEXT) | instid1(VALU_DEP_1)
	v_dual_sub_nc_u32 v0, v0, v46 :: v_dual_add_nc_u32 v46, 1, v47
	v_cmp_le_u32_e64 s0, s21, v0
	s_delay_alu instid0(VALU_DEP_1) | instskip(SKIP_1) | instid1(VALU_DEP_1)
	v_dual_cndmask_b32 v46, v47, v46, s0 :: v_dual_ashrrev_i32 v47, 31, v88
	v_subrev_nc_u32_e32 v48, s21, v0
	v_dual_cndmask_b32 v0, v0, v48, s0 :: v_dual_add_nc_u32 v48, 1, v46
	s_delay_alu instid0(VALU_DEP_1) | instskip(NEXT) | instid1(VALU_DEP_1)
	v_cmp_le_u32_e64 s0, s21, v0
	v_dual_cndmask_b32 v0, v46, v48, s0 :: v_dual_bitop2_b32 v47, s22, v47 bitop3:0x14
	s_delay_alu instid0(VALU_DEP_1) | instskip(NEXT) | instid1(VALU_DEP_1)
	v_xor_b32_e32 v0, v0, v47
	v_sub_nc_u32_e32 v0, v0, v47
	s_delay_alu instid0(VALU_DEP_1) | instskip(NEXT) | instid1(VALU_DEP_1)
	v_mul_lo_u32 v46, v0, s6
	v_sub_nc_u32_e32 v46, v88, v46
	s_delay_alu instid0(VALU_DEP_1) | instskip(SKIP_1) | instid1(VALU_DEP_2)
	v_mad_u32 v0, v0, s4, v46
	v_cmp_gt_i32_e64 s0, s4, v46
	v_cmp_gt_i32_e64 s1, s5, v0
	v_cmp_lt_i32_e64 s2, -1, v0
	s_and_b32 s0, s0, s1
	s_delay_alu instid0(SALU_CYCLE_1) | instskip(NEXT) | instid1(SALU_CYCLE_1)
	s_and_b32 s1, s0, s2
	s_and_saveexec_b32 s0, s1
	s_cbranch_execz .LBB0_47
; %bb.46:                               ;   in Loop: Header=BB0_3 Depth=1
	s_wait_kmcnt 0x0
	global_load_b64 v[42:43], v0, s[10:11] scale_offset
.LBB0_47:                               ;   in Loop: Header=BB0_3 Depth=1
	s_wait_xcnt 0x0
	s_or_b32 exec_lo, exec_lo, s0
	v_subrev_nc_u32_e32 v89, s15, v88
	s_delay_alu instid0(VALU_DEP_1) | instskip(NEXT) | instid1(VALU_DEP_1)
	v_sub_nc_u32_e32 v0, 0, v89
	v_max_i32_e32 v0, v89, v0
	s_delay_alu instid0(VALU_DEP_1) | instskip(NEXT) | instid1(VALU_DEP_1)
	v_mul_u64_e32 v[46:47], s[18:19], v[0:1]
	v_mul_lo_u32 v46, v47, s21
	s_delay_alu instid0(VALU_DEP_1) | instskip(NEXT) | instid1(VALU_DEP_1)
	v_dual_sub_nc_u32 v0, v0, v46 :: v_dual_add_nc_u32 v46, 1, v47
	v_cmp_le_u32_e64 s0, s21, v0
	s_delay_alu instid0(VALU_DEP_1) | instskip(SKIP_1) | instid1(VALU_DEP_1)
	v_dual_cndmask_b32 v46, v47, v46, s0 :: v_dual_ashrrev_i32 v47, 31, v89
	v_subrev_nc_u32_e32 v48, s21, v0
	v_dual_cndmask_b32 v0, v0, v48, s0 :: v_dual_add_nc_u32 v48, 1, v46
	s_delay_alu instid0(VALU_DEP_1) | instskip(NEXT) | instid1(VALU_DEP_1)
	v_cmp_le_u32_e64 s0, s21, v0
	v_dual_cndmask_b32 v0, v46, v48, s0 :: v_dual_bitop2_b32 v47, s22, v47 bitop3:0x14
	v_mov_b64_e32 v[48:49], 0
	s_delay_alu instid0(VALU_DEP_2) | instskip(NEXT) | instid1(VALU_DEP_1)
	v_xor_b32_e32 v0, v0, v47
	v_sub_nc_u32_e32 v0, v0, v47
	s_delay_alu instid0(VALU_DEP_1) | instskip(NEXT) | instid1(VALU_DEP_1)
	v_mul_lo_u32 v46, v0, s6
	v_sub_nc_u32_e32 v46, v89, v46
	s_delay_alu instid0(VALU_DEP_1) | instskip(SKIP_2) | instid1(VALU_DEP_3)
	v_mad_u32 v0, v0, s4, v46
	v_cmp_gt_i32_e64 s0, s4, v46
	v_mov_b64_e32 v[46:47], 0
	v_cmp_gt_i32_e64 s2, s5, v0
	v_cmp_lt_i32_e64 s1, -1, v0
	s_and_b32 s0, s0, s2
	s_delay_alu instid0(SALU_CYCLE_1) | instskip(NEXT) | instid1(SALU_CYCLE_1)
	s_and_b32 s1, s0, s1
	s_and_saveexec_b32 s0, s1
	s_cbranch_execz .LBB0_49
; %bb.48:                               ;   in Loop: Header=BB0_3 Depth=1
	s_wait_kmcnt 0x0
	global_load_b64 v[48:49], v0, s[10:11] scale_offset
.LBB0_49:                               ;   in Loop: Header=BB0_3 Depth=1
	s_wait_xcnt 0x0
	s_or_b32 exec_lo, exec_lo, s0
	v_subrev_nc_u32_e32 v90, s15, v89
	s_delay_alu instid0(VALU_DEP_1) | instskip(NEXT) | instid1(VALU_DEP_1)
	v_sub_nc_u32_e32 v0, 0, v90
	v_max_i32_e32 v0, v90, v0
	s_delay_alu instid0(VALU_DEP_1) | instskip(NEXT) | instid1(VALU_DEP_1)
	v_mul_u64_e32 v[50:51], s[18:19], v[0:1]
	v_mul_lo_u32 v50, v51, s21
	s_delay_alu instid0(VALU_DEP_1) | instskip(NEXT) | instid1(VALU_DEP_1)
	v_dual_sub_nc_u32 v0, v0, v50 :: v_dual_add_nc_u32 v50, 1, v51
	v_subrev_nc_u32_e32 v52, s21, v0
	v_cmp_le_u32_e64 s0, s21, v0
	s_delay_alu instid0(VALU_DEP_1) | instskip(NEXT) | instid1(VALU_DEP_3)
	v_cndmask_b32_e64 v50, v51, v50, s0
	v_dual_ashrrev_i32 v51, 31, v90 :: v_dual_cndmask_b32 v0, v0, v52, s0
	s_delay_alu instid0(VALU_DEP_2) | instskip(NEXT) | instid1(VALU_DEP_2)
	v_add_nc_u32_e32 v52, 1, v50
	v_cmp_le_u32_e64 s0, s21, v0
	s_delay_alu instid0(VALU_DEP_1) | instskip(NEXT) | instid1(VALU_DEP_1)
	v_dual_cndmask_b32 v0, v50, v52, s0 :: v_dual_bitop2_b32 v51, s22, v51 bitop3:0x14
	v_xor_b32_e32 v0, v0, v51
	s_delay_alu instid0(VALU_DEP_1) | instskip(NEXT) | instid1(VALU_DEP_1)
	v_sub_nc_u32_e32 v0, v0, v51
	v_mul_lo_u32 v50, v0, s6
	s_delay_alu instid0(VALU_DEP_1) | instskip(NEXT) | instid1(VALU_DEP_1)
	v_sub_nc_u32_e32 v50, v90, v50
	v_mad_u32 v0, v0, s4, v50
	v_cmp_gt_i32_e64 s0, s4, v50
	s_delay_alu instid0(VALU_DEP_2) | instskip(SKIP_2) | instid1(SALU_CYCLE_1)
	v_cmp_gt_i32_e64 s1, s5, v0
	v_cmp_lt_i32_e64 s2, -1, v0
	s_and_b32 s0, s0, s1
	s_and_b32 s1, s0, s2
	s_delay_alu instid0(SALU_CYCLE_1)
	s_and_saveexec_b32 s0, s1
	s_cbranch_execz .LBB0_51
; %bb.50:                               ;   in Loop: Header=BB0_3 Depth=1
	s_wait_kmcnt 0x0
	global_load_b64 v[46:47], v0, s[10:11] scale_offset
.LBB0_51:                               ;   in Loop: Header=BB0_3 Depth=1
	s_wait_xcnt 0x0
	s_or_b32 exec_lo, exec_lo, s0
	v_subrev_nc_u32_e32 v91, s15, v90
	s_delay_alu instid0(VALU_DEP_1) | instskip(NEXT) | instid1(VALU_DEP_1)
	v_sub_nc_u32_e32 v0, 0, v91
	v_max_i32_e32 v0, v91, v0
	s_delay_alu instid0(VALU_DEP_1) | instskip(NEXT) | instid1(VALU_DEP_1)
	v_mul_u64_e32 v[50:51], s[18:19], v[0:1]
	v_mul_lo_u32 v50, v51, s21
	s_delay_alu instid0(VALU_DEP_1) | instskip(NEXT) | instid1(VALU_DEP_1)
	v_dual_sub_nc_u32 v0, v0, v50 :: v_dual_add_nc_u32 v50, 1, v51
	v_cmp_le_u32_e64 s0, s21, v0
	s_delay_alu instid0(VALU_DEP_1) | instskip(SKIP_1) | instid1(VALU_DEP_1)
	v_dual_cndmask_b32 v50, v51, v50, s0 :: v_dual_ashrrev_i32 v51, 31, v91
	v_subrev_nc_u32_e32 v52, s21, v0
	v_dual_cndmask_b32 v0, v0, v52, s0 :: v_dual_add_nc_u32 v52, 1, v50
	s_delay_alu instid0(VALU_DEP_1) | instskip(NEXT) | instid1(VALU_DEP_1)
	v_cmp_le_u32_e64 s0, s21, v0
	v_dual_cndmask_b32 v0, v50, v52, s0 :: v_dual_bitop2_b32 v51, s22, v51 bitop3:0x14
	v_mov_b64_e32 v[52:53], 0
	s_delay_alu instid0(VALU_DEP_2) | instskip(NEXT) | instid1(VALU_DEP_1)
	v_xor_b32_e32 v0, v0, v51
	v_sub_nc_u32_e32 v0, v0, v51
	s_delay_alu instid0(VALU_DEP_1) | instskip(NEXT) | instid1(VALU_DEP_1)
	v_mul_lo_u32 v50, v0, s6
	v_sub_nc_u32_e32 v50, v91, v50
	s_delay_alu instid0(VALU_DEP_1) | instskip(SKIP_2) | instid1(VALU_DEP_3)
	v_mad_u32 v0, v0, s4, v50
	v_cmp_gt_i32_e64 s0, s4, v50
	v_mov_b64_e32 v[50:51], 0
	v_cmp_gt_i32_e64 s2, s5, v0
	v_cmp_lt_i32_e64 s1, -1, v0
	s_and_b32 s0, s0, s2
	s_delay_alu instid0(SALU_CYCLE_1) | instskip(NEXT) | instid1(SALU_CYCLE_1)
	s_and_b32 s1, s0, s1
	s_and_saveexec_b32 s0, s1
	s_cbranch_execz .LBB0_53
; %bb.52:                               ;   in Loop: Header=BB0_3 Depth=1
	s_wait_kmcnt 0x0
	global_load_b64 v[52:53], v0, s[10:11] scale_offset
.LBB0_53:                               ;   in Loop: Header=BB0_3 Depth=1
	s_wait_xcnt 0x0
	s_or_b32 exec_lo, exec_lo, s0
	v_subrev_nc_u32_e32 v92, s15, v91
	s_delay_alu instid0(VALU_DEP_1) | instskip(NEXT) | instid1(VALU_DEP_1)
	v_sub_nc_u32_e32 v0, 0, v92
	v_max_i32_e32 v0, v92, v0
	s_delay_alu instid0(VALU_DEP_1) | instskip(NEXT) | instid1(VALU_DEP_1)
	v_mul_u64_e32 v[54:55], s[18:19], v[0:1]
	v_mul_lo_u32 v54, v55, s21
	s_delay_alu instid0(VALU_DEP_1) | instskip(NEXT) | instid1(VALU_DEP_1)
	v_dual_sub_nc_u32 v0, v0, v54 :: v_dual_add_nc_u32 v54, 1, v55
	v_cmp_le_u32_e64 s0, s21, v0
	s_delay_alu instid0(VALU_DEP_1) | instskip(SKIP_1) | instid1(VALU_DEP_1)
	v_dual_cndmask_b32 v54, v55, v54, s0 :: v_dual_ashrrev_i32 v55, 31, v92
	v_subrev_nc_u32_e32 v56, s21, v0
	v_dual_cndmask_b32 v0, v0, v56, s0 :: v_dual_add_nc_u32 v56, 1, v54
	s_delay_alu instid0(VALU_DEP_1) | instskip(NEXT) | instid1(VALU_DEP_1)
	v_cmp_le_u32_e64 s0, s21, v0
	v_dual_cndmask_b32 v0, v54, v56, s0 :: v_dual_bitop2_b32 v55, s22, v55 bitop3:0x14
	s_delay_alu instid0(VALU_DEP_1) | instskip(NEXT) | instid1(VALU_DEP_1)
	v_xor_b32_e32 v0, v0, v55
	v_sub_nc_u32_e32 v0, v0, v55
	s_delay_alu instid0(VALU_DEP_1) | instskip(NEXT) | instid1(VALU_DEP_1)
	v_mul_lo_u32 v54, v0, s6
	v_sub_nc_u32_e32 v54, v92, v54
	s_delay_alu instid0(VALU_DEP_1) | instskip(SKIP_1) | instid1(VALU_DEP_2)
	v_mad_u32 v0, v0, s4, v54
	v_cmp_gt_i32_e64 s0, s4, v54
	v_cmp_gt_i32_e64 s1, s5, v0
	v_cmp_lt_i32_e64 s2, -1, v0
	s_and_b32 s0, s0, s1
	s_delay_alu instid0(SALU_CYCLE_1) | instskip(NEXT) | instid1(SALU_CYCLE_1)
	s_and_b32 s1, s0, s2
	s_and_saveexec_b32 s0, s1
	s_cbranch_execz .LBB0_55
; %bb.54:                               ;   in Loop: Header=BB0_3 Depth=1
	s_wait_kmcnt 0x0
	global_load_b64 v[50:51], v0, s[10:11] scale_offset
.LBB0_55:                               ;   in Loop: Header=BB0_3 Depth=1
	s_wait_xcnt 0x0
	s_or_b32 exec_lo, exec_lo, s0
	v_subrev_nc_u32_e32 v93, s15, v92
	s_delay_alu instid0(VALU_DEP_1) | instskip(NEXT) | instid1(VALU_DEP_1)
	v_sub_nc_u32_e32 v0, 0, v93
	v_max_i32_e32 v0, v93, v0
	s_delay_alu instid0(VALU_DEP_1) | instskip(NEXT) | instid1(VALU_DEP_1)
	v_mul_u64_e32 v[54:55], s[18:19], v[0:1]
	v_mul_lo_u32 v54, v55, s21
	s_delay_alu instid0(VALU_DEP_1) | instskip(NEXT) | instid1(VALU_DEP_1)
	v_dual_sub_nc_u32 v0, v0, v54 :: v_dual_add_nc_u32 v54, 1, v55
	v_cmp_le_u32_e64 s0, s21, v0
	s_delay_alu instid0(VALU_DEP_1) | instskip(SKIP_1) | instid1(VALU_DEP_1)
	v_dual_cndmask_b32 v54, v55, v54, s0 :: v_dual_ashrrev_i32 v55, 31, v93
	v_subrev_nc_u32_e32 v56, s21, v0
	v_dual_cndmask_b32 v0, v0, v56, s0 :: v_dual_add_nc_u32 v56, 1, v54
	s_delay_alu instid0(VALU_DEP_1) | instskip(NEXT) | instid1(VALU_DEP_1)
	v_cmp_le_u32_e64 s0, s21, v0
	v_dual_cndmask_b32 v0, v54, v56, s0 :: v_dual_bitop2_b32 v55, s22, v55 bitop3:0x14
	v_mov_b64_e32 v[56:57], 0
	s_delay_alu instid0(VALU_DEP_2) | instskip(NEXT) | instid1(VALU_DEP_1)
	v_xor_b32_e32 v0, v0, v55
	v_sub_nc_u32_e32 v0, v0, v55
	s_delay_alu instid0(VALU_DEP_1) | instskip(NEXT) | instid1(VALU_DEP_1)
	v_mul_lo_u32 v54, v0, s6
	v_sub_nc_u32_e32 v54, v93, v54
	s_delay_alu instid0(VALU_DEP_1) | instskip(SKIP_2) | instid1(VALU_DEP_3)
	v_mad_u32 v0, v0, s4, v54
	v_cmp_gt_i32_e64 s0, s4, v54
	v_mov_b64_e32 v[54:55], 0
	v_cmp_gt_i32_e64 s2, s5, v0
	v_cmp_lt_i32_e64 s1, -1, v0
	s_and_b32 s0, s0, s2
	s_delay_alu instid0(SALU_CYCLE_1) | instskip(NEXT) | instid1(SALU_CYCLE_1)
	s_and_b32 s1, s0, s1
	s_and_saveexec_b32 s0, s1
	s_cbranch_execz .LBB0_57
; %bb.56:                               ;   in Loop: Header=BB0_3 Depth=1
	s_wait_kmcnt 0x0
	global_load_b64 v[56:57], v0, s[10:11] scale_offset
.LBB0_57:                               ;   in Loop: Header=BB0_3 Depth=1
	s_wait_xcnt 0x0
	s_or_b32 exec_lo, exec_lo, s0
	v_subrev_nc_u32_e32 v94, s15, v93
	s_delay_alu instid0(VALU_DEP_1) | instskip(NEXT) | instid1(VALU_DEP_1)
	v_sub_nc_u32_e32 v0, 0, v94
	v_max_i32_e32 v0, v94, v0
	s_delay_alu instid0(VALU_DEP_1) | instskip(NEXT) | instid1(VALU_DEP_1)
	v_mul_u64_e32 v[58:59], s[18:19], v[0:1]
	v_mul_lo_u32 v58, v59, s21
	s_delay_alu instid0(VALU_DEP_1) | instskip(NEXT) | instid1(VALU_DEP_1)
	v_dual_sub_nc_u32 v0, v0, v58 :: v_dual_add_nc_u32 v58, 1, v59
	v_subrev_nc_u32_e32 v60, s21, v0
	v_cmp_le_u32_e64 s0, s21, v0
	s_delay_alu instid0(VALU_DEP_1) | instskip(NEXT) | instid1(VALU_DEP_3)
	v_cndmask_b32_e64 v58, v59, v58, s0
	v_dual_ashrrev_i32 v59, 31, v94 :: v_dual_cndmask_b32 v0, v0, v60, s0
	s_delay_alu instid0(VALU_DEP_2) | instskip(NEXT) | instid1(VALU_DEP_2)
	v_add_nc_u32_e32 v60, 1, v58
	v_cmp_le_u32_e64 s0, s21, v0
	s_delay_alu instid0(VALU_DEP_1) | instskip(NEXT) | instid1(VALU_DEP_1)
	v_dual_cndmask_b32 v0, v58, v60, s0 :: v_dual_bitop2_b32 v59, s22, v59 bitop3:0x14
	v_xor_b32_e32 v0, v0, v59
	s_delay_alu instid0(VALU_DEP_1) | instskip(NEXT) | instid1(VALU_DEP_1)
	v_sub_nc_u32_e32 v0, v0, v59
	v_mul_lo_u32 v58, v0, s6
	s_delay_alu instid0(VALU_DEP_1) | instskip(NEXT) | instid1(VALU_DEP_1)
	v_sub_nc_u32_e32 v58, v94, v58
	v_mad_u32 v0, v0, s4, v58
	v_cmp_gt_i32_e64 s0, s4, v58
	s_delay_alu instid0(VALU_DEP_2) | instskip(SKIP_2) | instid1(SALU_CYCLE_1)
	v_cmp_gt_i32_e64 s1, s5, v0
	v_cmp_lt_i32_e64 s2, -1, v0
	s_and_b32 s0, s0, s1
	s_and_b32 s1, s0, s2
	s_delay_alu instid0(SALU_CYCLE_1)
	s_and_saveexec_b32 s0, s1
	s_cbranch_execz .LBB0_59
; %bb.58:                               ;   in Loop: Header=BB0_3 Depth=1
	s_wait_kmcnt 0x0
	global_load_b64 v[54:55], v0, s[10:11] scale_offset
.LBB0_59:                               ;   in Loop: Header=BB0_3 Depth=1
	s_wait_xcnt 0x0
	s_or_b32 exec_lo, exec_lo, s0
	v_subrev_nc_u32_e32 v95, s15, v94
	s_delay_alu instid0(VALU_DEP_1) | instskip(NEXT) | instid1(VALU_DEP_1)
	v_sub_nc_u32_e32 v0, 0, v95
	v_max_i32_e32 v0, v95, v0
	s_delay_alu instid0(VALU_DEP_1) | instskip(NEXT) | instid1(VALU_DEP_1)
	v_mul_u64_e32 v[58:59], s[18:19], v[0:1]
	v_mul_lo_u32 v58, v59, s21
	s_delay_alu instid0(VALU_DEP_1) | instskip(NEXT) | instid1(VALU_DEP_1)
	v_dual_sub_nc_u32 v0, v0, v58 :: v_dual_add_nc_u32 v58, 1, v59
	v_cmp_le_u32_e64 s0, s21, v0
	s_delay_alu instid0(VALU_DEP_1) | instskip(SKIP_1) | instid1(VALU_DEP_1)
	v_dual_cndmask_b32 v58, v59, v58, s0 :: v_dual_ashrrev_i32 v59, 31, v95
	v_subrev_nc_u32_e32 v60, s21, v0
	v_dual_cndmask_b32 v0, v0, v60, s0 :: v_dual_add_nc_u32 v60, 1, v58
	s_delay_alu instid0(VALU_DEP_1) | instskip(NEXT) | instid1(VALU_DEP_1)
	v_cmp_le_u32_e64 s0, s21, v0
	v_dual_cndmask_b32 v0, v58, v60, s0 :: v_dual_bitop2_b32 v59, s22, v59 bitop3:0x14
	v_mov_b64_e32 v[60:61], 0
	s_delay_alu instid0(VALU_DEP_2) | instskip(NEXT) | instid1(VALU_DEP_1)
	v_xor_b32_e32 v0, v0, v59
	v_sub_nc_u32_e32 v0, v0, v59
	s_delay_alu instid0(VALU_DEP_1) | instskip(NEXT) | instid1(VALU_DEP_1)
	v_mul_lo_u32 v58, v0, s6
	v_sub_nc_u32_e32 v58, v95, v58
	s_delay_alu instid0(VALU_DEP_1) | instskip(SKIP_2) | instid1(VALU_DEP_3)
	v_mad_u32 v0, v0, s4, v58
	v_cmp_gt_i32_e64 s0, s4, v58
	v_mov_b64_e32 v[58:59], 0
	v_cmp_gt_i32_e64 s2, s5, v0
	v_cmp_lt_i32_e64 s1, -1, v0
	s_and_b32 s0, s0, s2
	s_delay_alu instid0(SALU_CYCLE_1) | instskip(NEXT) | instid1(SALU_CYCLE_1)
	s_and_b32 s1, s0, s1
	s_and_saveexec_b32 s0, s1
	s_cbranch_execz .LBB0_61
; %bb.60:                               ;   in Loop: Header=BB0_3 Depth=1
	s_wait_kmcnt 0x0
	global_load_b64 v[60:61], v0, s[10:11] scale_offset
.LBB0_61:                               ;   in Loop: Header=BB0_3 Depth=1
	s_wait_xcnt 0x0
	s_or_b32 exec_lo, exec_lo, s0
	v_subrev_nc_u32_e32 v96, s15, v95
	s_delay_alu instid0(VALU_DEP_1) | instskip(NEXT) | instid1(VALU_DEP_1)
	v_sub_nc_u32_e32 v0, 0, v96
	v_max_i32_e32 v0, v96, v0
	s_delay_alu instid0(VALU_DEP_1) | instskip(NEXT) | instid1(VALU_DEP_1)
	v_mul_u64_e32 v[62:63], s[18:19], v[0:1]
	v_mul_lo_u32 v62, v63, s21
	s_delay_alu instid0(VALU_DEP_1) | instskip(NEXT) | instid1(VALU_DEP_1)
	v_dual_sub_nc_u32 v0, v0, v62 :: v_dual_add_nc_u32 v62, 1, v63
	v_cmp_le_u32_e64 s0, s21, v0
	s_delay_alu instid0(VALU_DEP_1) | instskip(SKIP_1) | instid1(VALU_DEP_1)
	v_dual_cndmask_b32 v62, v63, v62, s0 :: v_dual_ashrrev_i32 v63, 31, v96
	v_subrev_nc_u32_e32 v64, s21, v0
	v_dual_cndmask_b32 v0, v0, v64, s0 :: v_dual_add_nc_u32 v64, 1, v62
	s_delay_alu instid0(VALU_DEP_1) | instskip(NEXT) | instid1(VALU_DEP_1)
	v_cmp_le_u32_e64 s0, s21, v0
	v_dual_cndmask_b32 v0, v62, v64, s0 :: v_dual_bitop2_b32 v63, s22, v63 bitop3:0x14
	s_delay_alu instid0(VALU_DEP_1) | instskip(NEXT) | instid1(VALU_DEP_1)
	v_xor_b32_e32 v0, v0, v63
	v_sub_nc_u32_e32 v0, v0, v63
	s_delay_alu instid0(VALU_DEP_1) | instskip(NEXT) | instid1(VALU_DEP_1)
	v_mul_lo_u32 v62, v0, s6
	v_sub_nc_u32_e32 v62, v96, v62
	s_delay_alu instid0(VALU_DEP_1) | instskip(SKIP_1) | instid1(VALU_DEP_2)
	v_mad_u32 v0, v0, s4, v62
	v_cmp_gt_i32_e64 s0, s4, v62
	v_cmp_gt_i32_e64 s1, s5, v0
	v_cmp_lt_i32_e64 s2, -1, v0
	s_and_b32 s0, s0, s1
	s_delay_alu instid0(SALU_CYCLE_1) | instskip(NEXT) | instid1(SALU_CYCLE_1)
	s_and_b32 s1, s0, s2
	s_and_saveexec_b32 s0, s1
	s_cbranch_execz .LBB0_63
; %bb.62:                               ;   in Loop: Header=BB0_3 Depth=1
	s_wait_kmcnt 0x0
	global_load_b64 v[58:59], v0, s[10:11] scale_offset
.LBB0_63:                               ;   in Loop: Header=BB0_3 Depth=1
	s_wait_xcnt 0x0
	s_or_b32 exec_lo, exec_lo, s0
	v_subrev_nc_u32_e32 v97, s15, v96
	s_delay_alu instid0(VALU_DEP_1) | instskip(NEXT) | instid1(VALU_DEP_1)
	v_sub_nc_u32_e32 v0, 0, v97
	v_max_i32_e32 v0, v97, v0
	s_delay_alu instid0(VALU_DEP_1) | instskip(NEXT) | instid1(VALU_DEP_1)
	v_mul_u64_e32 v[62:63], s[18:19], v[0:1]
	v_mul_lo_u32 v62, v63, s21
	s_delay_alu instid0(VALU_DEP_1) | instskip(NEXT) | instid1(VALU_DEP_1)
	v_dual_sub_nc_u32 v0, v0, v62 :: v_dual_add_nc_u32 v62, 1, v63
	v_cmp_le_u32_e64 s0, s21, v0
	s_delay_alu instid0(VALU_DEP_1) | instskip(SKIP_1) | instid1(VALU_DEP_1)
	v_dual_cndmask_b32 v62, v63, v62, s0 :: v_dual_ashrrev_i32 v63, 31, v97
	v_subrev_nc_u32_e32 v64, s21, v0
	v_dual_cndmask_b32 v0, v0, v64, s0 :: v_dual_add_nc_u32 v64, 1, v62
	s_delay_alu instid0(VALU_DEP_1) | instskip(NEXT) | instid1(VALU_DEP_1)
	v_cmp_le_u32_e64 s0, s21, v0
	v_dual_cndmask_b32 v0, v62, v64, s0 :: v_dual_bitop2_b32 v63, s22, v63 bitop3:0x14
	v_mov_b64_e32 v[64:65], 0
	s_delay_alu instid0(VALU_DEP_2) | instskip(NEXT) | instid1(VALU_DEP_1)
	v_xor_b32_e32 v0, v0, v63
	v_sub_nc_u32_e32 v0, v0, v63
	s_delay_alu instid0(VALU_DEP_1) | instskip(NEXT) | instid1(VALU_DEP_1)
	v_mul_lo_u32 v62, v0, s6
	v_sub_nc_u32_e32 v62, v97, v62
	s_delay_alu instid0(VALU_DEP_1) | instskip(SKIP_2) | instid1(VALU_DEP_3)
	v_mad_u32 v0, v0, s4, v62
	v_cmp_gt_i32_e64 s0, s4, v62
	v_mov_b64_e32 v[62:63], 0
	v_cmp_gt_i32_e64 s2, s5, v0
	v_cmp_lt_i32_e64 s1, -1, v0
	s_and_b32 s0, s0, s2
	s_delay_alu instid0(SALU_CYCLE_1) | instskip(NEXT) | instid1(SALU_CYCLE_1)
	s_and_b32 s1, s0, s1
	s_and_saveexec_b32 s0, s1
	s_cbranch_execz .LBB0_65
; %bb.64:                               ;   in Loop: Header=BB0_3 Depth=1
	s_wait_kmcnt 0x0
	global_load_b64 v[64:65], v0, s[10:11] scale_offset
.LBB0_65:                               ;   in Loop: Header=BB0_3 Depth=1
	s_wait_xcnt 0x0
	s_or_b32 exec_lo, exec_lo, s0
	v_subrev_nc_u32_e32 v98, s15, v97
	s_delay_alu instid0(VALU_DEP_1) | instskip(NEXT) | instid1(VALU_DEP_1)
	v_sub_nc_u32_e32 v0, 0, v98
	v_max_i32_e32 v0, v98, v0
	s_delay_alu instid0(VALU_DEP_1) | instskip(NEXT) | instid1(VALU_DEP_1)
	v_mul_u64_e32 v[100:101], s[18:19], v[0:1]
	v_mul_lo_u32 v99, v101, s21
	s_delay_alu instid0(VALU_DEP_1) | instskip(NEXT) | instid1(VALU_DEP_1)
	v_dual_sub_nc_u32 v0, v0, v99 :: v_dual_add_nc_u32 v99, 1, v101
	v_cmp_le_u32_e64 s0, s21, v0
	s_delay_alu instid0(VALU_DEP_1) | instskip(SKIP_1) | instid1(VALU_DEP_1)
	v_dual_cndmask_b32 v99, v101, v99, s0 :: v_dual_ashrrev_i32 v101, 31, v98
	v_subrev_nc_u32_e32 v100, s21, v0
	v_dual_cndmask_b32 v0, v0, v100, s0 :: v_dual_add_nc_u32 v100, 1, v99
	s_delay_alu instid0(VALU_DEP_1) | instskip(NEXT) | instid1(VALU_DEP_1)
	v_cmp_le_u32_e64 s0, s21, v0
	v_dual_cndmask_b32 v0, v99, v100, s0 :: v_dual_bitop2_b32 v101, s22, v101 bitop3:0x14
	s_delay_alu instid0(VALU_DEP_1) | instskip(NEXT) | instid1(VALU_DEP_1)
	v_xor_b32_e32 v0, v0, v101
	v_sub_nc_u32_e32 v0, v0, v101
	s_delay_alu instid0(VALU_DEP_1) | instskip(NEXT) | instid1(VALU_DEP_1)
	v_mul_lo_u32 v99, v0, s6
	v_sub_nc_u32_e32 v99, v98, v99
	s_delay_alu instid0(VALU_DEP_1) | instskip(SKIP_1) | instid1(VALU_DEP_2)
	v_mad_u32 v0, v0, s4, v99
	v_cmp_gt_i32_e64 s0, s4, v99
	v_cmp_gt_i32_e64 s1, s5, v0
	v_cmp_lt_i32_e64 s2, -1, v0
	s_and_b32 s0, s0, s1
	s_delay_alu instid0(SALU_CYCLE_1) | instskip(NEXT) | instid1(SALU_CYCLE_1)
	s_and_b32 s1, s0, s2
	s_and_saveexec_b32 s0, s1
	s_cbranch_execz .LBB0_67
; %bb.66:                               ;   in Loop: Header=BB0_3 Depth=1
	s_wait_kmcnt 0x0
	global_load_b64 v[62:63], v0, s[10:11] scale_offset
.LBB0_67:                               ;   in Loop: Header=BB0_3 Depth=1
	s_wait_xcnt 0x0
	s_or_b32 exec_lo, exec_lo, s0
	s_wait_loadcnt 0x0
	s_barrier_signal -1
	s_barrier_wait -1
	s_and_saveexec_b32 s1, vcc_lo
	s_cbranch_execz .LBB0_74
; %bb.68:                               ;   in Loop: Header=BB0_3 Depth=1
	s_ashr_i32 s17, s16, 31
	s_delay_alu instid0(SALU_CYCLE_1)
	s_lshl_b64 s[2:3], s[16:17], 2
	s_wait_kmcnt 0x0
	s_add_nc_u64 s[2:3], s[12:13], s[2:3]
	s_branch .LBB0_70
.LBB0_69:                               ;   in Loop: Header=BB0_70 Depth=2
	s_wait_xcnt 0x0
	s_or_b32 exec_lo, exec_lo, s17
	s_wait_loadcnt 0x0
	v_readfirstlane_b32 s0, v0
	s_cmp_eq_u32 s0, 0
	s_cbranch_scc0 .LBB0_72
.LBB0_70:                               ;   Parent Loop BB0_3 Depth=1
                                        ; =>  This Inner Loop Header: Depth=2
	v_mbcnt_lo_u32_b32 v0, exec_lo, 0
	s_delay_alu instid0(VALU_DEP_1)
	v_cmp_eq_u32_e64 s0, 0, v0
                                        ; implicit-def: $vgpr0
	s_and_saveexec_b32 s17, s0
	s_cbranch_execz .LBB0_69
; %bb.71:                               ;   in Loop: Header=BB0_70 Depth=2
	global_load_b32 v0, v1, s[2:3] scope:SCOPE_DEV
	s_branch .LBB0_69
.LBB0_72:                               ;   in Loop: Header=BB0_3 Depth=1
	s_mov_b32 s17, exec_lo
	s_delay_alu instid0(SALU_CYCLE_1) | instskip(NEXT) | instid1(VALU_DEP_1)
	v_mbcnt_lo_u32_b32 v0, s17, 0
	v_cmp_eq_u32_e64 s0, 0, v0
	s_and_b32 s0, exec_lo, s0
	s_delay_alu instid0(SALU_CYCLE_1)
	s_mov_b32 exec_lo, s0
	s_cbranch_execz .LBB0_74
; %bb.73:                               ;   in Loop: Header=BB0_3 Depth=1
	s_bcnt1_i32_b32 s0, s17
	s_delay_alu instid0(SALU_CYCLE_1)
	v_mov_b32_e32 v0, s0
	global_atomic_add_u32 v1, v0, s[2:3] offset:4 scope:SCOPE_DEV
.LBB0_74:                               ;   in Loop: Header=BB0_3 Depth=1
	s_wait_xcnt 0x0
	s_or_b32 exec_lo, exec_lo, s1
	v_cmp_lt_i32_e64 s0, -1, v67
	v_cmp_gt_i32_e64 s1, s5, v67
	s_wait_storecnt 0x0
	s_barrier_signal -1
	s_barrier_wait -1
	s_and_b32 s1, s0, s1
	s_delay_alu instid0(SALU_CYCLE_1)
	s_and_saveexec_b32 s0, s1
	s_cbranch_execz .LBB0_76
; %bb.75:                               ;   in Loop: Header=BB0_3 Depth=1
	s_wait_kmcnt 0x0
	global_store_b64 v67, v[4:5], s[8:9] scale_offset
.LBB0_76:                               ;   in Loop: Header=BB0_3 Depth=1
	s_wait_xcnt 0x0
	s_or_b32 exec_lo, exec_lo, s0
	v_cmp_lt_i32_e64 s0, -1, v68
	v_cmp_gt_i32_e64 s1, s5, v68
	s_and_b32 s1, s0, s1
	s_delay_alu instid0(SALU_CYCLE_1)
	s_and_saveexec_b32 s0, s1
	s_cbranch_execz .LBB0_78
; %bb.77:                               ;   in Loop: Header=BB0_3 Depth=1
	s_wait_kmcnt 0x0
	global_store_b64 v68, v[2:3], s[8:9] scale_offset
.LBB0_78:                               ;   in Loop: Header=BB0_3 Depth=1
	s_wait_xcnt 0x0
	s_or_b32 exec_lo, exec_lo, s0
	v_cmp_lt_i32_e64 s0, -1, v69
	v_cmp_gt_i32_e64 s1, s5, v69
	;; [unrolled: 12-line block ×12, first 2 shown]
	s_and_b32 s1, s0, s1
	s_delay_alu instid0(SALU_CYCLE_1)
	s_and_saveexec_b32 s0, s1
	s_cbranch_execz .LBB0_100
; %bb.99:                               ;   in Loop: Header=BB0_3 Depth=1
	s_wait_kmcnt 0x0
	global_store_b64 v79, v[28:29], s[8:9] scale_offset
.LBB0_100:                              ;   in Loop: Header=BB0_3 Depth=1
	s_wait_xcnt 0x0
	s_or_b32 exec_lo, exec_lo, s0
	v_cmp_lt_i32_e64 s0, -1, v80
	v_cmp_gt_i32_e64 s1, s5, v80
	s_and_b32 s1, s0, s1
	s_delay_alu instid0(SALU_CYCLE_1)
	s_and_saveexec_b32 s0, s1
	s_cbranch_execz .LBB0_102
; %bb.101:                              ;   in Loop: Header=BB0_3 Depth=1
	s_wait_kmcnt 0x0
	global_store_b64 v80, v[26:27], s[8:9] scale_offset
.LBB0_102:                              ;   in Loop: Header=BB0_3 Depth=1
	s_wait_xcnt 0x0
	s_or_b32 exec_lo, exec_lo, s0
	v_cmp_lt_i32_e64 s0, -1, v81
	v_cmp_gt_i32_e64 s1, s5, v81
	s_and_b32 s1, s0, s1
	s_delay_alu instid0(SALU_CYCLE_1)
	s_and_saveexec_b32 s0, s1
	s_cbranch_execz .LBB0_104
; %bb.103:                              ;   in Loop: Header=BB0_3 Depth=1
	s_wait_kmcnt 0x0
	global_store_b64 v81, v[32:33], s[8:9] scale_offset
.LBB0_104:                              ;   in Loop: Header=BB0_3 Depth=1
	;; [unrolled: 12-line block ×18, first 2 shown]
	s_wait_xcnt 0x0
	s_or_b32 exec_lo, exec_lo, s0
	v_cmp_lt_i32_e64 s0, -1, v98
	v_cmp_gt_i32_e64 s1, s5, v98
	s_and_b32 s1, s0, s1
	s_delay_alu instid0(SALU_CYCLE_1)
	s_and_saveexec_b32 s0, s1
	s_cbranch_execz .LBB0_2
; %bb.137:                              ;   in Loop: Header=BB0_3 Depth=1
	s_wait_kmcnt 0x0
	global_store_b64 v98, v[62:63], s[8:9] scale_offset
	s_branch .LBB0_2
.LBB0_138:
	s_sendmsg sendmsg(MSG_DEALLOC_VGPRS)
	s_endpgm
	.section	.rodata,"a",@progbits
	.p2align	6, 0x0
	.amdhsa_kernel _Z14Padding_kerneliiiifPdPKdPi
		.amdhsa_group_segment_fixed_size 0
		.amdhsa_private_segment_fixed_size 0
		.amdhsa_kernarg_size 304
		.amdhsa_user_sgpr_count 2
		.amdhsa_user_sgpr_dispatch_ptr 0
		.amdhsa_user_sgpr_queue_ptr 0
		.amdhsa_user_sgpr_kernarg_segment_ptr 1
		.amdhsa_user_sgpr_dispatch_id 0
		.amdhsa_user_sgpr_kernarg_preload_length 0
		.amdhsa_user_sgpr_kernarg_preload_offset 0
		.amdhsa_user_sgpr_private_segment_size 0
		.amdhsa_wavefront_size32 1
		.amdhsa_uses_dynamic_stack 0
		.amdhsa_enable_private_segment 0
		.amdhsa_system_sgpr_workgroup_id_x 1
		.amdhsa_system_sgpr_workgroup_id_y 0
		.amdhsa_system_sgpr_workgroup_id_z 0
		.amdhsa_system_sgpr_workgroup_info 0
		.amdhsa_system_vgpr_workitem_id 0
		.amdhsa_next_free_vgpr 102
		.amdhsa_next_free_sgpr 23
		.amdhsa_named_barrier_count 0
		.amdhsa_reserve_vcc 1
		.amdhsa_float_round_mode_32 0
		.amdhsa_float_round_mode_16_64 0
		.amdhsa_float_denorm_mode_32 3
		.amdhsa_float_denorm_mode_16_64 3
		.amdhsa_fp16_overflow 0
		.amdhsa_memory_ordered 1
		.amdhsa_forward_progress 1
		.amdhsa_inst_pref_size 75
		.amdhsa_round_robin_scheduling 0
		.amdhsa_exception_fp_ieee_invalid_op 0
		.amdhsa_exception_fp_denorm_src 0
		.amdhsa_exception_fp_ieee_div_zero 0
		.amdhsa_exception_fp_ieee_overflow 0
		.amdhsa_exception_fp_ieee_underflow 0
		.amdhsa_exception_fp_ieee_inexact 0
		.amdhsa_exception_int_div_zero 0
	.end_amdhsa_kernel
	.text
.Lfunc_end0:
	.size	_Z14Padding_kerneliiiifPdPKdPi, .Lfunc_end0-_Z14Padding_kerneliiiifPdPKdPi
                                        ; -- End function
	.set _Z14Padding_kerneliiiifPdPKdPi.num_vgpr, 102
	.set _Z14Padding_kerneliiiifPdPKdPi.num_agpr, 0
	.set _Z14Padding_kerneliiiifPdPKdPi.numbered_sgpr, 23
	.set _Z14Padding_kerneliiiifPdPKdPi.num_named_barrier, 0
	.set _Z14Padding_kerneliiiifPdPKdPi.private_seg_size, 0
	.set _Z14Padding_kerneliiiifPdPKdPi.uses_vcc, 1
	.set _Z14Padding_kerneliiiifPdPKdPi.uses_flat_scratch, 0
	.set _Z14Padding_kerneliiiifPdPKdPi.has_dyn_sized_stack, 0
	.set _Z14Padding_kerneliiiifPdPKdPi.has_recursion, 0
	.set _Z14Padding_kerneliiiifPdPKdPi.has_indirect_call, 0
	.section	.AMDGPU.csdata,"",@progbits
; Kernel info:
; codeLenInByte = 9576
; TotalNumSgprs: 25
; NumVgprs: 102
; ScratchSize: 0
; MemoryBound: 0
; FloatMode: 240
; IeeeMode: 1
; LDSByteSize: 0 bytes/workgroup (compile time only)
; SGPRBlocks: 0
; VGPRBlocks: 6
; NumSGPRsForWavesPerEU: 25
; NumVGPRsForWavesPerEU: 102
; NamedBarCnt: 0
; Occupancy: 9
; WaveLimiterHint : 0
; COMPUTE_PGM_RSRC2:SCRATCH_EN: 0
; COMPUTE_PGM_RSRC2:USER_SGPR: 2
; COMPUTE_PGM_RSRC2:TRAP_HANDLER: 0
; COMPUTE_PGM_RSRC2:TGID_X_EN: 1
; COMPUTE_PGM_RSRC2:TGID_Y_EN: 0
; COMPUTE_PGM_RSRC2:TGID_Z_EN: 0
; COMPUTE_PGM_RSRC2:TIDIG_COMP_CNT: 0
	.text
	.p2alignl 7, 3214868480
	.fill 96, 4, 3214868480
	.section	.AMDGPU.gpr_maximums,"",@progbits
	.set amdgpu.max_num_vgpr, 0
	.set amdgpu.max_num_agpr, 0
	.set amdgpu.max_num_sgpr, 0
	.text
	.type	__hip_cuid_c0739f04108c086a,@object ; @__hip_cuid_c0739f04108c086a
	.section	.bss,"aw",@nobits
	.globl	__hip_cuid_c0739f04108c086a
__hip_cuid_c0739f04108c086a:
	.byte	0                               ; 0x0
	.size	__hip_cuid_c0739f04108c086a, 1

	.ident	"AMD clang version 22.0.0git (https://github.com/RadeonOpenCompute/llvm-project roc-7.2.4 26084 f58b06dce1f9c15707c5f808fd002e18c2accf7e)"
	.section	".note.GNU-stack","",@progbits
	.addrsig
	.addrsig_sym __hip_cuid_c0739f04108c086a
	.amdgpu_metadata
---
amdhsa.kernels:
  - .args:
      - .offset:         0
        .size:           4
        .value_kind:     by_value
      - .offset:         4
        .size:           4
        .value_kind:     by_value
      - .offset:         8
        .size:           4
        .value_kind:     by_value
      - .offset:         12
        .size:           4
        .value_kind:     by_value
      - .offset:         16
        .size:           4
        .value_kind:     by_value
      - .actual_access:  write_only
        .address_space:  global
        .offset:         24
        .size:           8
        .value_kind:     global_buffer
      - .address_space:  global
        .offset:         32
        .size:           8
        .value_kind:     global_buffer
      - .address_space:  global
        .offset:         40
        .size:           8
        .value_kind:     global_buffer
      - .offset:         48
        .size:           4
        .value_kind:     hidden_block_count_x
      - .offset:         52
        .size:           4
        .value_kind:     hidden_block_count_y
      - .offset:         56
        .size:           4
        .value_kind:     hidden_block_count_z
      - .offset:         60
        .size:           2
        .value_kind:     hidden_group_size_x
      - .offset:         62
        .size:           2
        .value_kind:     hidden_group_size_y
      - .offset:         64
        .size:           2
        .value_kind:     hidden_group_size_z
      - .offset:         66
        .size:           2
        .value_kind:     hidden_remainder_x
      - .offset:         68
        .size:           2
        .value_kind:     hidden_remainder_y
      - .offset:         70
        .size:           2
        .value_kind:     hidden_remainder_z
      - .offset:         88
        .size:           8
        .value_kind:     hidden_global_offset_x
      - .offset:         96
        .size:           8
        .value_kind:     hidden_global_offset_y
      - .offset:         104
        .size:           8
        .value_kind:     hidden_global_offset_z
      - .offset:         112
        .size:           2
        .value_kind:     hidden_grid_dims
    .group_segment_fixed_size: 0
    .kernarg_segment_align: 8
    .kernarg_segment_size: 304
    .language:       OpenCL C
    .language_version:
      - 2
      - 0
    .max_flat_workgroup_size: 1024
    .name:           _Z14Padding_kerneliiiifPdPKdPi
    .private_segment_fixed_size: 0
    .sgpr_count:     25
    .sgpr_spill_count: 0
    .symbol:         _Z14Padding_kerneliiiifPdPKdPi.kd
    .uniform_work_group_size: 1
    .uses_dynamic_stack: false
    .vgpr_count:     102
    .vgpr_spill_count: 0
    .wavefront_size: 32
amdhsa.target:   amdgcn-amd-amdhsa--gfx1250
amdhsa.version:
  - 1
  - 2
...

	.end_amdgpu_metadata
